;; amdgpu-corpus repo=ROCm/rocSOLVER kind=compiled arch=gfx90a opt=O3
	.text
	.amdgcn_target "amdgcn-amd-amdhsa--gfx90a"
	.amdhsa_code_object_version 6
	.section	.text._ZN9rocsolver6v33100L10reset_infoIiiiEEvPT_T0_T1_S4_,"axG",@progbits,_ZN9rocsolver6v33100L10reset_infoIiiiEEvPT_T0_T1_S4_,comdat
	.globl	_ZN9rocsolver6v33100L10reset_infoIiiiEEvPT_T0_T1_S4_ ; -- Begin function _ZN9rocsolver6v33100L10reset_infoIiiiEEvPT_T0_T1_S4_
	.p2align	8
	.type	_ZN9rocsolver6v33100L10reset_infoIiiiEEvPT_T0_T1_S4_,@function
_ZN9rocsolver6v33100L10reset_infoIiiiEEvPT_T0_T1_S4_: ; @_ZN9rocsolver6v33100L10reset_infoIiiiEEvPT_T0_T1_S4_
; %bb.0:
	s_load_dword s7, s[4:5], 0x24
	s_load_dwordx4 s[0:3], s[4:5], 0x8
	s_waitcnt lgkmcnt(0)
	s_and_b32 s3, s7, 0xffff
	s_mul_i32 s6, s6, s3
	v_add_u32_e32 v0, s6, v0
	v_cmp_gt_i32_e32 vcc, s0, v0
	s_and_saveexec_b64 s[6:7], vcc
	s_cbranch_execz .LBB0_2
; %bb.1:
	s_load_dwordx2 s[4:5], s[4:5], 0x0
	v_ashrrev_i32_e32 v1, 31, v0
	v_lshlrev_b64 v[2:3], 2, v[0:1]
	v_mul_lo_u32 v0, v0, s2
	v_add_u32_e32 v0, s1, v0
	s_waitcnt lgkmcnt(0)
	v_mov_b32_e32 v1, s5
	v_add_co_u32_e32 v2, vcc, s4, v2
	v_addc_co_u32_e32 v3, vcc, v1, v3, vcc
	global_store_dword v[2:3], v0, off
.LBB0_2:
	s_endpgm
	.section	.rodata,"a",@progbits
	.p2align	6, 0x0
	.amdhsa_kernel _ZN9rocsolver6v33100L10reset_infoIiiiEEvPT_T0_T1_S4_
		.amdhsa_group_segment_fixed_size 0
		.amdhsa_private_segment_fixed_size 0
		.amdhsa_kernarg_size 280
		.amdhsa_user_sgpr_count 6
		.amdhsa_user_sgpr_private_segment_buffer 1
		.amdhsa_user_sgpr_dispatch_ptr 0
		.amdhsa_user_sgpr_queue_ptr 0
		.amdhsa_user_sgpr_kernarg_segment_ptr 1
		.amdhsa_user_sgpr_dispatch_id 0
		.amdhsa_user_sgpr_flat_scratch_init 0
		.amdhsa_user_sgpr_kernarg_preload_length 0
		.amdhsa_user_sgpr_kernarg_preload_offset 0
		.amdhsa_user_sgpr_private_segment_size 0
		.amdhsa_uses_dynamic_stack 0
		.amdhsa_system_sgpr_private_segment_wavefront_offset 0
		.amdhsa_system_sgpr_workgroup_id_x 1
		.amdhsa_system_sgpr_workgroup_id_y 0
		.amdhsa_system_sgpr_workgroup_id_z 0
		.amdhsa_system_sgpr_workgroup_info 0
		.amdhsa_system_vgpr_workitem_id 0
		.amdhsa_next_free_vgpr 4
		.amdhsa_next_free_sgpr 8
		.amdhsa_accum_offset 4
		.amdhsa_reserve_vcc 1
		.amdhsa_reserve_flat_scratch 0
		.amdhsa_float_round_mode_32 0
		.amdhsa_float_round_mode_16_64 0
		.amdhsa_float_denorm_mode_32 3
		.amdhsa_float_denorm_mode_16_64 3
		.amdhsa_dx10_clamp 1
		.amdhsa_ieee_mode 1
		.amdhsa_fp16_overflow 0
		.amdhsa_tg_split 0
		.amdhsa_exception_fp_ieee_invalid_op 0
		.amdhsa_exception_fp_denorm_src 0
		.amdhsa_exception_fp_ieee_div_zero 0
		.amdhsa_exception_fp_ieee_overflow 0
		.amdhsa_exception_fp_ieee_underflow 0
		.amdhsa_exception_fp_ieee_inexact 0
		.amdhsa_exception_int_div_zero 0
	.end_amdhsa_kernel
	.section	.text._ZN9rocsolver6v33100L10reset_infoIiiiEEvPT_T0_T1_S4_,"axG",@progbits,_ZN9rocsolver6v33100L10reset_infoIiiiEEvPT_T0_T1_S4_,comdat
.Lfunc_end0:
	.size	_ZN9rocsolver6v33100L10reset_infoIiiiEEvPT_T0_T1_S4_, .Lfunc_end0-_ZN9rocsolver6v33100L10reset_infoIiiiEEvPT_T0_T1_S4_
                                        ; -- End function
	.section	.AMDGPU.csdata,"",@progbits
; Kernel info:
; codeLenInByte = 108
; NumSgprs: 12
; NumVgprs: 4
; NumAgprs: 0
; TotalNumVgprs: 4
; ScratchSize: 0
; MemoryBound: 0
; FloatMode: 240
; IeeeMode: 1
; LDSByteSize: 0 bytes/workgroup (compile time only)
; SGPRBlocks: 1
; VGPRBlocks: 0
; NumSGPRsForWavesPerEU: 12
; NumVGPRsForWavesPerEU: 4
; AccumOffset: 4
; Occupancy: 8
; WaveLimiterHint : 0
; COMPUTE_PGM_RSRC2:SCRATCH_EN: 0
; COMPUTE_PGM_RSRC2:USER_SGPR: 6
; COMPUTE_PGM_RSRC2:TRAP_HANDLER: 0
; COMPUTE_PGM_RSRC2:TGID_X_EN: 1
; COMPUTE_PGM_RSRC2:TGID_Y_EN: 0
; COMPUTE_PGM_RSRC2:TGID_Z_EN: 0
; COMPUTE_PGM_RSRC2:TIDIG_COMP_CNT: 0
; COMPUTE_PGM_RSRC3_GFX90A:ACCUM_OFFSET: 0
; COMPUTE_PGM_RSRC3_GFX90A:TG_SPLIT: 0
	.section	.text._ZN9rocsolver6v33100L10reset_infoIfiiEEvPT_T0_T1_S4_,"axG",@progbits,_ZN9rocsolver6v33100L10reset_infoIfiiEEvPT_T0_T1_S4_,comdat
	.globl	_ZN9rocsolver6v33100L10reset_infoIfiiEEvPT_T0_T1_S4_ ; -- Begin function _ZN9rocsolver6v33100L10reset_infoIfiiEEvPT_T0_T1_S4_
	.p2align	8
	.type	_ZN9rocsolver6v33100L10reset_infoIfiiEEvPT_T0_T1_S4_,@function
_ZN9rocsolver6v33100L10reset_infoIfiiEEvPT_T0_T1_S4_: ; @_ZN9rocsolver6v33100L10reset_infoIfiiEEvPT_T0_T1_S4_
; %bb.0:
	s_load_dword s7, s[4:5], 0x24
	s_load_dwordx4 s[0:3], s[4:5], 0x8
	s_waitcnt lgkmcnt(0)
	s_and_b32 s3, s7, 0xffff
	s_mul_i32 s6, s6, s3
	v_add_u32_e32 v0, s6, v0
	v_cmp_gt_i32_e32 vcc, s0, v0
	s_and_saveexec_b64 s[6:7], vcc
	s_cbranch_execz .LBB1_2
; %bb.1:
	v_cvt_f32_i32_e32 v2, s1
	v_mul_lo_u32 v1, v0, s2
	s_load_dwordx2 s[0:1], s[4:5], 0x0
	v_cvt_f32_i32_e32 v3, v1
	v_ashrrev_i32_e32 v1, 31, v0
	v_lshlrev_b64 v[0:1], 2, v[0:1]
	v_add_f32_e32 v2, v2, v3
	s_waitcnt lgkmcnt(0)
	v_mov_b32_e32 v3, s1
	v_add_co_u32_e32 v0, vcc, s0, v0
	v_addc_co_u32_e32 v1, vcc, v3, v1, vcc
	global_store_dword v[0:1], v2, off
.LBB1_2:
	s_endpgm
	.section	.rodata,"a",@progbits
	.p2align	6, 0x0
	.amdhsa_kernel _ZN9rocsolver6v33100L10reset_infoIfiiEEvPT_T0_T1_S4_
		.amdhsa_group_segment_fixed_size 0
		.amdhsa_private_segment_fixed_size 0
		.amdhsa_kernarg_size 280
		.amdhsa_user_sgpr_count 6
		.amdhsa_user_sgpr_private_segment_buffer 1
		.amdhsa_user_sgpr_dispatch_ptr 0
		.amdhsa_user_sgpr_queue_ptr 0
		.amdhsa_user_sgpr_kernarg_segment_ptr 1
		.amdhsa_user_sgpr_dispatch_id 0
		.amdhsa_user_sgpr_flat_scratch_init 0
		.amdhsa_user_sgpr_kernarg_preload_length 0
		.amdhsa_user_sgpr_kernarg_preload_offset 0
		.amdhsa_user_sgpr_private_segment_size 0
		.amdhsa_uses_dynamic_stack 0
		.amdhsa_system_sgpr_private_segment_wavefront_offset 0
		.amdhsa_system_sgpr_workgroup_id_x 1
		.amdhsa_system_sgpr_workgroup_id_y 0
		.amdhsa_system_sgpr_workgroup_id_z 0
		.amdhsa_system_sgpr_workgroup_info 0
		.amdhsa_system_vgpr_workitem_id 0
		.amdhsa_next_free_vgpr 4
		.amdhsa_next_free_sgpr 8
		.amdhsa_accum_offset 4
		.amdhsa_reserve_vcc 1
		.amdhsa_reserve_flat_scratch 0
		.amdhsa_float_round_mode_32 0
		.amdhsa_float_round_mode_16_64 0
		.amdhsa_float_denorm_mode_32 3
		.amdhsa_float_denorm_mode_16_64 3
		.amdhsa_dx10_clamp 1
		.amdhsa_ieee_mode 1
		.amdhsa_fp16_overflow 0
		.amdhsa_tg_split 0
		.amdhsa_exception_fp_ieee_invalid_op 0
		.amdhsa_exception_fp_denorm_src 0
		.amdhsa_exception_fp_ieee_div_zero 0
		.amdhsa_exception_fp_ieee_overflow 0
		.amdhsa_exception_fp_ieee_underflow 0
		.amdhsa_exception_fp_ieee_inexact 0
		.amdhsa_exception_int_div_zero 0
	.end_amdhsa_kernel
	.section	.text._ZN9rocsolver6v33100L10reset_infoIfiiEEvPT_T0_T1_S4_,"axG",@progbits,_ZN9rocsolver6v33100L10reset_infoIfiiEEvPT_T0_T1_S4_,comdat
.Lfunc_end1:
	.size	_ZN9rocsolver6v33100L10reset_infoIfiiEEvPT_T0_T1_S4_, .Lfunc_end1-_ZN9rocsolver6v33100L10reset_infoIfiiEEvPT_T0_T1_S4_
                                        ; -- End function
	.section	.AMDGPU.csdata,"",@progbits
; Kernel info:
; codeLenInByte = 116
; NumSgprs: 12
; NumVgprs: 4
; NumAgprs: 0
; TotalNumVgprs: 4
; ScratchSize: 0
; MemoryBound: 0
; FloatMode: 240
; IeeeMode: 1
; LDSByteSize: 0 bytes/workgroup (compile time only)
; SGPRBlocks: 1
; VGPRBlocks: 0
; NumSGPRsForWavesPerEU: 12
; NumVGPRsForWavesPerEU: 4
; AccumOffset: 4
; Occupancy: 8
; WaveLimiterHint : 0
; COMPUTE_PGM_RSRC2:SCRATCH_EN: 0
; COMPUTE_PGM_RSRC2:USER_SGPR: 6
; COMPUTE_PGM_RSRC2:TRAP_HANDLER: 0
; COMPUTE_PGM_RSRC2:TGID_X_EN: 1
; COMPUTE_PGM_RSRC2:TGID_Y_EN: 0
; COMPUTE_PGM_RSRC2:TGID_Z_EN: 0
; COMPUTE_PGM_RSRC2:TIDIG_COMP_CNT: 0
; COMPUTE_PGM_RSRC3_GFX90A:ACCUM_OFFSET: 0
; COMPUTE_PGM_RSRC3_GFX90A:TG_SPLIT: 0
	.section	.text._ZN9rocsolver6v33100L8copy_matIfPfS2_NS0_7no_maskEEEviiT0_iilT1_iilT2_13rocblas_fill_17rocblas_diagonal_,"axG",@progbits,_ZN9rocsolver6v33100L8copy_matIfPfS2_NS0_7no_maskEEEviiT0_iilT1_iilT2_13rocblas_fill_17rocblas_diagonal_,comdat
	.globl	_ZN9rocsolver6v33100L8copy_matIfPfS2_NS0_7no_maskEEEviiT0_iilT1_iilT2_13rocblas_fill_17rocblas_diagonal_ ; -- Begin function _ZN9rocsolver6v33100L8copy_matIfPfS2_NS0_7no_maskEEEviiT0_iilT1_iilT2_13rocblas_fill_17rocblas_diagonal_
	.p2align	8
	.type	_ZN9rocsolver6v33100L8copy_matIfPfS2_NS0_7no_maskEEEviiT0_iilT1_iilT2_13rocblas_fill_17rocblas_diagonal_,@function
_ZN9rocsolver6v33100L8copy_matIfPfS2_NS0_7no_maskEEEviiT0_iilT1_iilT2_13rocblas_fill_17rocblas_diagonal_: ; @_ZN9rocsolver6v33100L8copy_matIfPfS2_NS0_7no_maskEEEviiT0_iilT1_iilT2_13rocblas_fill_17rocblas_diagonal_
; %bb.0:
	s_load_dword s2, s[4:5], 0x54
	s_load_dwordx2 s[0:1], s[4:5], 0x0
	v_bfe_u32 v1, v0, 10, 10
	v_and_b32_e32 v0, 0x3ff, v0
	s_waitcnt lgkmcnt(0)
	s_lshr_b32 s3, s2, 16
	s_and_b32 s2, s2, 0xffff
	s_mul_i32 s7, s7, s3
	s_mul_i32 s6, s6, s2
	v_add_u32_e32 v1, s7, v1
	v_add_u32_e32 v0, s6, v0
	v_cmp_gt_u32_e32 vcc, s0, v0
	v_cmp_gt_u32_e64 s[0:1], s1, v1
	s_and_b64 s[0:1], s[0:1], vcc
	s_and_saveexec_b64 s[2:3], s[0:1]
	s_cbranch_execz .LBB2_14
; %bb.1:
	s_load_dwordx2 s[2:3], s[4:5], 0x3c
	s_waitcnt lgkmcnt(0)
	s_cmpk_lt_i32 s2, 0x7a
	s_cbranch_scc1 .LBB2_4
; %bb.2:
	s_cmpk_gt_i32 s2, 0x7a
	s_cbranch_scc0 .LBB2_5
; %bb.3:
	s_cmpk_lg_i32 s2, 0x7b
	s_mov_b64 s[6:7], -1
	s_cselect_b64 s[10:11], -1, 0
	s_cbranch_execz .LBB2_6
	s_branch .LBB2_7
.LBB2_4:
	s_mov_b64 s[10:11], 0
	s_mov_b64 s[6:7], 0
	s_cbranch_execnz .LBB2_8
	s_branch .LBB2_10
.LBB2_5:
	s_mov_b64 s[6:7], 0
	s_mov_b64 s[10:11], 0
.LBB2_6:
	v_cmp_gt_u32_e32 vcc, v0, v1
	v_cmp_le_u32_e64 s[0:1], v0, v1
	s_andn2_b64 s[6:7], s[6:7], exec
	s_and_b64 s[12:13], vcc, exec
	s_andn2_b64 s[10:11], s[10:11], exec
	s_and_b64 s[0:1], s[0:1], exec
	s_or_b64 s[6:7], s[6:7], s[12:13]
	s_or_b64 s[10:11], s[10:11], s[0:1]
.LBB2_7:
	s_branch .LBB2_10
.LBB2_8:
	s_cmpk_eq_i32 s2, 0x79
	s_mov_b64 s[10:11], -1
	s_cbranch_scc0 .LBB2_10
; %bb.9:
	v_cmp_gt_u32_e32 vcc, v1, v0
	v_cmp_le_u32_e64 s[0:1], v1, v0
	s_andn2_b64 s[6:7], s[6:7], exec
	s_and_b64 s[10:11], vcc, exec
	s_or_b64 s[6:7], s[6:7], s[10:11]
	s_orn2_b64 s[10:11], s[0:1], exec
.LBB2_10:
	s_and_saveexec_b64 s[0:1], s[10:11]
; %bb.11:
	s_cmpk_eq_i32 s3, 0x83
	s_cselect_b64 s[2:3], -1, 0
	v_cmp_eq_u32_e32 vcc, v0, v1
	s_and_b64 s[2:3], s[2:3], vcc
	s_andn2_b64 s[6:7], s[6:7], exec
	s_and_b64 s[2:3], s[2:3], exec
	s_or_b64 s[6:7], s[6:7], s[2:3]
; %bb.12:
	s_or_b64 exec, exec, s[0:1]
	s_and_b64 exec, exec, s[6:7]
	s_cbranch_execz .LBB2_14
; %bb.13:
	s_load_dwordx8 s[12:19], s[4:5], 0x8
	s_waitcnt lgkmcnt(0)
	s_mul_i32 s3, s8, s17
	s_mul_hi_u32 s6, s8, s16
	s_mul_i32 s2, s8, s16
	s_add_i32 s3, s6, s3
	s_ashr_i32 s1, s14, 31
	s_lshl_b64 s[2:3], s[2:3], 2
	s_mov_b32 s0, s14
	s_add_u32 s2, s12, s2
	s_addc_u32 s3, s13, s3
	s_lshl_b64 s[0:1], s[0:1], 2
	s_add_u32 s2, s2, s0
	s_addc_u32 s3, s3, s1
	v_mad_u64_u32 v[2:3], s[0:1], v1, s15, v[0:1]
	v_mov_b32_e32 v3, 0
	v_lshlrev_b64 v[4:5], 2, v[2:3]
	v_mov_b32_e32 v2, s3
	v_add_co_u32_e32 v4, vcc, s2, v4
	v_addc_co_u32_e32 v5, vcc, v2, v5, vcc
	global_load_dword v2, v[4:5], off
	s_load_dwordx4 s[0:3], s[4:5], 0x28
	s_waitcnt lgkmcnt(0)
	s_ashr_i32 s5, s0, 31
	s_mov_b32 s4, s0
	s_mul_i32 s0, s8, s3
	s_mul_hi_u32 s3, s8, s2
	s_add_i32 s3, s3, s0
	s_mul_i32 s2, s8, s2
	s_lshl_b64 s[2:3], s[2:3], 2
	s_add_u32 s0, s18, s2
	s_addc_u32 s6, s19, s3
	s_lshl_b64 s[2:3], s[4:5], 2
	s_add_u32 s2, s0, s2
	v_mad_u64_u32 v[0:1], s[0:1], v1, s1, v[0:1]
	v_mov_b32_e32 v1, v3
	s_addc_u32 s3, s6, s3
	v_lshlrev_b64 v[0:1], 2, v[0:1]
	v_mov_b32_e32 v3, s3
	v_add_co_u32_e32 v0, vcc, s2, v0
	v_addc_co_u32_e32 v1, vcc, v3, v1, vcc
	s_waitcnt vmcnt(0)
	global_store_dword v[0:1], v2, off
.LBB2_14:
	s_endpgm
	.section	.rodata,"a",@progbits
	.p2align	6, 0x0
	.amdhsa_kernel _ZN9rocsolver6v33100L8copy_matIfPfS2_NS0_7no_maskEEEviiT0_iilT1_iilT2_13rocblas_fill_17rocblas_diagonal_
		.amdhsa_group_segment_fixed_size 0
		.amdhsa_private_segment_fixed_size 0
		.amdhsa_kernarg_size 328
		.amdhsa_user_sgpr_count 6
		.amdhsa_user_sgpr_private_segment_buffer 1
		.amdhsa_user_sgpr_dispatch_ptr 0
		.amdhsa_user_sgpr_queue_ptr 0
		.amdhsa_user_sgpr_kernarg_segment_ptr 1
		.amdhsa_user_sgpr_dispatch_id 0
		.amdhsa_user_sgpr_flat_scratch_init 0
		.amdhsa_user_sgpr_kernarg_preload_length 0
		.amdhsa_user_sgpr_kernarg_preload_offset 0
		.amdhsa_user_sgpr_private_segment_size 0
		.amdhsa_uses_dynamic_stack 0
		.amdhsa_system_sgpr_private_segment_wavefront_offset 0
		.amdhsa_system_sgpr_workgroup_id_x 1
		.amdhsa_system_sgpr_workgroup_id_y 1
		.amdhsa_system_sgpr_workgroup_id_z 1
		.amdhsa_system_sgpr_workgroup_info 0
		.amdhsa_system_vgpr_workitem_id 1
		.amdhsa_next_free_vgpr 6
		.amdhsa_next_free_sgpr 20
		.amdhsa_accum_offset 8
		.amdhsa_reserve_vcc 1
		.amdhsa_reserve_flat_scratch 0
		.amdhsa_float_round_mode_32 0
		.amdhsa_float_round_mode_16_64 0
		.amdhsa_float_denorm_mode_32 3
		.amdhsa_float_denorm_mode_16_64 3
		.amdhsa_dx10_clamp 1
		.amdhsa_ieee_mode 1
		.amdhsa_fp16_overflow 0
		.amdhsa_tg_split 0
		.amdhsa_exception_fp_ieee_invalid_op 0
		.amdhsa_exception_fp_denorm_src 0
		.amdhsa_exception_fp_ieee_div_zero 0
		.amdhsa_exception_fp_ieee_overflow 0
		.amdhsa_exception_fp_ieee_underflow 0
		.amdhsa_exception_fp_ieee_inexact 0
		.amdhsa_exception_int_div_zero 0
	.end_amdhsa_kernel
	.section	.text._ZN9rocsolver6v33100L8copy_matIfPfS2_NS0_7no_maskEEEviiT0_iilT1_iilT2_13rocblas_fill_17rocblas_diagonal_,"axG",@progbits,_ZN9rocsolver6v33100L8copy_matIfPfS2_NS0_7no_maskEEEviiT0_iilT1_iilT2_13rocblas_fill_17rocblas_diagonal_,comdat
.Lfunc_end2:
	.size	_ZN9rocsolver6v33100L8copy_matIfPfS2_NS0_7no_maskEEEviiT0_iilT1_iilT2_13rocblas_fill_17rocblas_diagonal_, .Lfunc_end2-_ZN9rocsolver6v33100L8copy_matIfPfS2_NS0_7no_maskEEEviiT0_iilT1_iilT2_13rocblas_fill_17rocblas_diagonal_
                                        ; -- End function
	.section	.AMDGPU.csdata,"",@progbits
; Kernel info:
; codeLenInByte = 492
; NumSgprs: 24
; NumVgprs: 6
; NumAgprs: 0
; TotalNumVgprs: 6
; ScratchSize: 0
; MemoryBound: 0
; FloatMode: 240
; IeeeMode: 1
; LDSByteSize: 0 bytes/workgroup (compile time only)
; SGPRBlocks: 2
; VGPRBlocks: 0
; NumSGPRsForWavesPerEU: 24
; NumVGPRsForWavesPerEU: 6
; AccumOffset: 8
; Occupancy: 8
; WaveLimiterHint : 0
; COMPUTE_PGM_RSRC2:SCRATCH_EN: 0
; COMPUTE_PGM_RSRC2:USER_SGPR: 6
; COMPUTE_PGM_RSRC2:TRAP_HANDLER: 0
; COMPUTE_PGM_RSRC2:TGID_X_EN: 1
; COMPUTE_PGM_RSRC2:TGID_Y_EN: 1
; COMPUTE_PGM_RSRC2:TGID_Z_EN: 1
; COMPUTE_PGM_RSRC2:TIDIG_COMP_CNT: 1
; COMPUTE_PGM_RSRC3_GFX90A:ACCUM_OFFSET: 1
; COMPUTE_PGM_RSRC3_GFX90A:TG_SPLIT: 0
	.section	.text._ZN9rocsolver6v33100L18stebz_case1_kernelIfPfEEv15rocblas_erange_T_S4_T0_ilPiS6_PS4_lS6_lS6_li,"axG",@progbits,_ZN9rocsolver6v33100L18stebz_case1_kernelIfPfEEv15rocblas_erange_T_S4_T0_ilPiS6_PS4_lS6_lS6_li,comdat
	.globl	_ZN9rocsolver6v33100L18stebz_case1_kernelIfPfEEv15rocblas_erange_T_S4_T0_ilPiS6_PS4_lS6_lS6_li ; -- Begin function _ZN9rocsolver6v33100L18stebz_case1_kernelIfPfEEv15rocblas_erange_T_S4_T0_ilPiS6_PS4_lS6_lS6_li
	.p2align	8
	.type	_ZN9rocsolver6v33100L18stebz_case1_kernelIfPfEEv15rocblas_erange_T_S4_T0_ilPiS6_PS4_lS6_lS6_li,@function
_ZN9rocsolver6v33100L18stebz_case1_kernelIfPfEEv15rocblas_erange_T_S4_T0_ilPiS6_PS4_lS6_lS6_li: ; @_ZN9rocsolver6v33100L18stebz_case1_kernelIfPfEEv15rocblas_erange_T_S4_T0_ilPiS6_PS4_lS6_lS6_li
; %bb.0:
	s_load_dword s0, s[4:5], 0x7c
	s_load_dword s1, s[4:5], 0x68
	s_waitcnt lgkmcnt(0)
	s_and_b32 s0, s0, 0xffff
	s_mul_i32 s6, s6, s0
	v_add_u32_e32 v0, s6, v0
	v_cmp_gt_i32_e32 vcc, s1, v0
	s_and_saveexec_b64 s[0:1], vcc
	s_cbranch_execz .LBB3_7
; %bb.1:
	s_load_dword s0, s[4:5], 0x18
	s_load_dwordx16 s[8:23], s[4:5], 0x20
	s_load_dwordx2 s[2:3], s[4:5], 0x10
	v_ashrrev_i32_e32 v1, 31, v0
	s_waitcnt lgkmcnt(0)
	s_ashr_i32 s1, s0, 31
	v_mul_lo_u32 v4, v0, s9
	v_mul_lo_u32 v5, v1, s8
	v_mad_u64_u32 v[2:3], s[6:7], v0, s8, 0
	s_lshl_b64 s[0:1], s[0:1], 2
	v_add3_u32 v3, v3, v4, v5
	s_add_u32 s0, s0, s2
	v_lshlrev_b64 v[2:3], 2, v[2:3]
	s_addc_u32 s1, s1, s3
	v_mov_b32_e32 v4, s1
	v_add_co_u32_e32 v2, vcc, s0, v2
	v_addc_co_u32_e32 v3, vcc, v4, v3, vcc
	global_load_dword v4, v[2:3], off
	s_load_dwordx2 s[6:7], s[4:5], 0x60
	s_load_dwordx4 s[0:3], s[4:5], 0x0
	s_waitcnt lgkmcnt(0)
	v_mul_lo_u32 v5, v0, s7
	v_mul_lo_u32 v6, v1, s6
	v_mad_u64_u32 v[2:3], s[4:5], v0, s6, 0
	v_add3_u32 v3, v3, v5, v6
	v_lshlrev_b64 v[2:3], 2, v[2:3]
	v_mov_b32_e32 v5, s23
	v_add_co_u32_e32 v6, vcc, s22, v2
	v_addc_co_u32_e32 v7, vcc, v5, v3, vcc
	v_lshlrev_b64 v[2:3], 2, v[0:1]
	v_mov_b32_e32 v5, s13
	v_add_co_u32_e32 v8, vcc, s12, v2
	s_cmpk_lg_i32 s0, 0xe8
	v_addc_co_u32_e32 v9, vcc, v5, v3, vcc
	s_cselect_b64 s[4:5], -1, 0
	v_mov_b32_e32 v5, 1
	s_and_b64 vcc, exec, s[4:5]
	global_store_dword v[8:9], v5, off
	global_store_dword v[6:7], v5, off
	s_cbranch_vccnz .LBB3_3
; %bb.2:
	s_waitcnt vmcnt(2)
	v_cmp_nge_f32_e32 vcc, s1, v4
	v_cmp_nlt_f32_e64 s[0:1], s2, v4
	s_and_b64 s[2:3], vcc, s[0:1]
	s_andn2_b64 s[4:5], s[4:5], exec
	s_and_b64 s[2:3], s[2:3], exec
	s_mov_b64 s[0:1], -1
	s_or_b64 s[4:5], s[4:5], s[2:3]
	s_and_saveexec_b64 s[2:3], s[4:5]
	s_xor_b64 s[2:3], exec, s[2:3]
	s_cbranch_execnz .LBB3_4
	s_branch .LBB3_5
.LBB3_3:
	s_mov_b64 s[0:1], 0
	s_and_saveexec_b64 s[2:3], s[4:5]
	s_xor_b64 s[2:3], exec, s[2:3]
	s_cbranch_execz .LBB3_5
.LBB3_4:
	v_mul_lo_u32 v5, v1, s16
	v_mul_lo_u32 v8, v0, s17
	v_mad_u64_u32 v[6:7], s[4:5], v0, s16, 0
	v_add3_u32 v7, v7, v8, v5
	v_lshlrev_b64 v[6:7], 2, v[6:7]
	v_mov_b32_e32 v5, s15
	v_add_co_u32_e32 v6, vcc, s14, v6
	v_addc_co_u32_e32 v7, vcc, v5, v7, vcc
	v_mul_lo_u32 v5, v1, s20
	v_mul_lo_u32 v8, v0, s21
	v_mad_u64_u32 v[0:1], s[4:5], v0, s20, 0
	v_add3_u32 v1, v1, v8, v5
	v_lshlrev_b64 v[0:1], 2, v[0:1]
	v_mov_b32_e32 v5, s19
	v_add_co_u32_e32 v0, vcc, s18, v0
	v_addc_co_u32_e32 v1, vcc, v5, v1, vcc
	v_mov_b32_e32 v5, s11
	v_add_co_u32_e32 v8, vcc, s10, v2
	v_addc_co_u32_e32 v9, vcc, v5, v3, vcc
	v_mov_b32_e32 v5, 1
	global_store_dword v[8:9], v5, off
	s_waitcnt vmcnt(3)
	global_store_dword v[6:7], v4, off
	global_store_dword v[0:1], v5, off
	s_andn2_b64 s[0:1], s[0:1], exec
.LBB3_5:
	s_or_b64 exec, exec, s[2:3]
	s_and_b64 exec, exec, s[0:1]
	s_cbranch_execz .LBB3_7
; %bb.6:
	v_mov_b32_e32 v1, s11
	v_add_co_u32_e32 v0, vcc, s10, v2
	v_addc_co_u32_e32 v1, vcc, v1, v3, vcc
	v_mov_b32_e32 v2, 0
	global_store_dword v[0:1], v2, off
.LBB3_7:
	s_endpgm
	.section	.rodata,"a",@progbits
	.p2align	6, 0x0
	.amdhsa_kernel _ZN9rocsolver6v33100L18stebz_case1_kernelIfPfEEv15rocblas_erange_T_S4_T0_ilPiS6_PS4_lS6_lS6_li
		.amdhsa_group_segment_fixed_size 0
		.amdhsa_private_segment_fixed_size 0
		.amdhsa_kernarg_size 368
		.amdhsa_user_sgpr_count 6
		.amdhsa_user_sgpr_private_segment_buffer 1
		.amdhsa_user_sgpr_dispatch_ptr 0
		.amdhsa_user_sgpr_queue_ptr 0
		.amdhsa_user_sgpr_kernarg_segment_ptr 1
		.amdhsa_user_sgpr_dispatch_id 0
		.amdhsa_user_sgpr_flat_scratch_init 0
		.amdhsa_user_sgpr_kernarg_preload_length 0
		.amdhsa_user_sgpr_kernarg_preload_offset 0
		.amdhsa_user_sgpr_private_segment_size 0
		.amdhsa_uses_dynamic_stack 0
		.amdhsa_system_sgpr_private_segment_wavefront_offset 0
		.amdhsa_system_sgpr_workgroup_id_x 1
		.amdhsa_system_sgpr_workgroup_id_y 0
		.amdhsa_system_sgpr_workgroup_id_z 0
		.amdhsa_system_sgpr_workgroup_info 0
		.amdhsa_system_vgpr_workitem_id 0
		.amdhsa_next_free_vgpr 10
		.amdhsa_next_free_sgpr 24
		.amdhsa_accum_offset 12
		.amdhsa_reserve_vcc 1
		.amdhsa_reserve_flat_scratch 0
		.amdhsa_float_round_mode_32 0
		.amdhsa_float_round_mode_16_64 0
		.amdhsa_float_denorm_mode_32 3
		.amdhsa_float_denorm_mode_16_64 3
		.amdhsa_dx10_clamp 1
		.amdhsa_ieee_mode 1
		.amdhsa_fp16_overflow 0
		.amdhsa_tg_split 0
		.amdhsa_exception_fp_ieee_invalid_op 0
		.amdhsa_exception_fp_denorm_src 0
		.amdhsa_exception_fp_ieee_div_zero 0
		.amdhsa_exception_fp_ieee_overflow 0
		.amdhsa_exception_fp_ieee_underflow 0
		.amdhsa_exception_fp_ieee_inexact 0
		.amdhsa_exception_int_div_zero 0
	.end_amdhsa_kernel
	.section	.text._ZN9rocsolver6v33100L18stebz_case1_kernelIfPfEEv15rocblas_erange_T_S4_T0_ilPiS6_PS4_lS6_lS6_li,"axG",@progbits,_ZN9rocsolver6v33100L18stebz_case1_kernelIfPfEEv15rocblas_erange_T_S4_T0_ilPiS6_PS4_lS6_lS6_li,comdat
.Lfunc_end3:
	.size	_ZN9rocsolver6v33100L18stebz_case1_kernelIfPfEEv15rocblas_erange_T_S4_T0_ilPiS6_PS4_lS6_lS6_li, .Lfunc_end3-_ZN9rocsolver6v33100L18stebz_case1_kernelIfPfEEv15rocblas_erange_T_S4_T0_ilPiS6_PS4_lS6_lS6_li
                                        ; -- End function
	.section	.AMDGPU.csdata,"",@progbits
; Kernel info:
; codeLenInByte = 544
; NumSgprs: 28
; NumVgprs: 10
; NumAgprs: 0
; TotalNumVgprs: 10
; ScratchSize: 0
; MemoryBound: 0
; FloatMode: 240
; IeeeMode: 1
; LDSByteSize: 0 bytes/workgroup (compile time only)
; SGPRBlocks: 3
; VGPRBlocks: 1
; NumSGPRsForWavesPerEU: 28
; NumVGPRsForWavesPerEU: 10
; AccumOffset: 12
; Occupancy: 8
; WaveLimiterHint : 0
; COMPUTE_PGM_RSRC2:SCRATCH_EN: 0
; COMPUTE_PGM_RSRC2:USER_SGPR: 6
; COMPUTE_PGM_RSRC2:TRAP_HANDLER: 0
; COMPUTE_PGM_RSRC2:TGID_X_EN: 1
; COMPUTE_PGM_RSRC2:TGID_Y_EN: 0
; COMPUTE_PGM_RSRC2:TGID_Z_EN: 0
; COMPUTE_PGM_RSRC2:TIDIG_COMP_CNT: 0
; COMPUTE_PGM_RSRC3_GFX90A:ACCUM_OFFSET: 2
; COMPUTE_PGM_RSRC3_GFX90A:TG_SPLIT: 0
	.section	.text._ZN9rocsolver6v33100L22stebz_splitting_kernelIfPfEEv15rocblas_erange_iT_S4_iiT0_iiS5_iiPiPS4_lS6_lS6_S7_S7_S7_S7_S6_S4_S4_,"axG",@progbits,_ZN9rocsolver6v33100L22stebz_splitting_kernelIfPfEEv15rocblas_erange_iT_S4_iiT0_iiS5_iiPiPS4_lS6_lS6_S7_S7_S7_S7_S6_S4_S4_,comdat
	.globl	_ZN9rocsolver6v33100L22stebz_splitting_kernelIfPfEEv15rocblas_erange_iT_S4_iiT0_iiS5_iiPiPS4_lS6_lS6_S7_S7_S7_S7_S6_S4_S4_ ; -- Begin function _ZN9rocsolver6v33100L22stebz_splitting_kernelIfPfEEv15rocblas_erange_iT_S4_iiT0_iiS5_iiPiPS4_lS6_lS6_S7_S7_S7_S7_S6_S4_S4_
	.p2align	8
	.type	_ZN9rocsolver6v33100L22stebz_splitting_kernelIfPfEEv15rocblas_erange_iT_S4_iiT0_iiS5_iiPiPS4_lS6_lS6_S7_S7_S7_S7_S6_S4_S4_,@function
_ZN9rocsolver6v33100L22stebz_splitting_kernelIfPfEEv15rocblas_erange_iT_S4_iiT0_iiS5_iiPiPS4_lS6_lS6_S7_S7_S7_S7_S6_S4_S4_: ; @_ZN9rocsolver6v33100L22stebz_splitting_kernelIfPfEEv15rocblas_erange_iT_S4_iiT0_iiS5_iiPiPS4_lS6_lS6_S7_S7_S7_S7_S6_S4_S4_
; %bb.0:
	s_load_dwordx4 s[24:27], s[4:5], 0x0
	s_load_dwordx2 s[36:37], s[4:5], 0x10
	s_mov_b32 s34, s7
	v_mov_b32_e32 v2, 0
	v_mov_b32_e32 v6, 0
	s_waitcnt lgkmcnt(0)
	s_add_i32 s33, s25, -1
	s_ashr_i32 s0, s33, 31
	s_lshr_b32 s0, s0, 24
	s_add_i32 s0, s33, s0
	s_ashr_i32 s1, s0, 8
	s_and_b32 s0, s0, 0xffffff00
	s_sub_i32 s0, s33, s0
	v_mov_b32_e32 v1, s1
	v_cmp_gt_i32_e32 vcc, s0, v0
	v_addc_co_u32_e32 v16, vcc, 0, v1, vcc
	v_lshlrev_b32_e32 v1, 2, v0
	v_cmp_eq_u32_e64 s[0:1], 0, v0
	v_cmp_ne_u32_e32 vcc, 0, v0
	ds_write_b32 v1, v16
	s_waitcnt lgkmcnt(0)
	s_barrier
	s_and_saveexec_b64 s[6:7], vcc
	s_cbranch_execz .LBB4_16
; %bb.1:
	v_cmp_lt_u32_e64 s[2:3], 3, v0
	s_mov_b64 s[10:11], -1
	s_mov_b32 s12, 0
	v_mov_b32_e32 v6, 0
	v_mov_b32_e32 v3, 0
	s_and_saveexec_b64 s[8:9], s[2:3]
	s_cbranch_execz .LBB4_11
; %bb.2:
	v_add_u32_e32 v4, -4, v0
	v_lshrrev_b32_e32 v3, 2, v4
	s_mov_b32 s13, s12
	v_add_u32_e32 v3, 1, v3
	v_cmp_lt_u32_e64 s[2:3], 27, v4
	v_pk_mov_b32 v[6:7], s[12:13], s[12:13] op_sel:[0,1]
	v_mov_b32_e32 v9, 0
	v_pk_mov_b32 v[4:5], s[12:13], s[12:13] op_sel:[0,1]
	s_and_saveexec_b64 s[10:11], s[2:3]
	s_cbranch_execz .LBB4_6
; %bb.3:
	v_and_b32_e32 v8, 0x7ffffff8, v3
	s_mov_b32 s14, 0
	s_mov_b32 s15, 0
	s_mov_b64 s[12:13], 0
	v_mov_b32_e32 v4, 0
	v_mov_b32_e32 v5, 0
	;; [unrolled: 1-line block ×4, first 2 shown]
.LBB4_4:                                ; =>This Inner Loop Header: Depth=1
	v_mov_b32_e32 v9, s14
	ds_read_b128 v[10:13], v9
	ds_read_b128 v[18:21], v9 offset:16
	ds_read_b128 v[22:25], v9 offset:32
	;; [unrolled: 1-line block ×7, first 2 shown]
	s_waitcnt lgkmcnt(7)
	v_add_u32_e32 v4, v10, v4
	v_add_u32_e32 v5, v11, v5
	v_add_u32_e32 v6, v12, v6
	v_add_u32_e32 v7, v13, v7
	s_waitcnt lgkmcnt(6)
	v_add_u32_e32 v5, v19, v5
	v_add_u32_e32 v4, v18, v4
	v_add_u32_e32 v7, v21, v7
	v_add_u32_e32 v6, v20, v6
	;; [unrolled: 5-line block ×5, first 2 shown]
	v_add_u32_e32 v8, -8, v8
	s_waitcnt lgkmcnt(2)
	v_add_u32_e32 v5, v35, v5
	v_add_u32_e32 v4, v34, v4
	;; [unrolled: 1-line block ×4, first 2 shown]
	s_add_i32 s15, s15, 32
	s_addk_i32 s14, 0x80
	v_cmp_eq_u32_e64 s[2:3], 0, v8
	s_waitcnt lgkmcnt(1)
	v_add_u32_e32 v4, v38, v4
	v_add_u32_e32 v5, v39, v5
	;; [unrolled: 1-line block ×4, first 2 shown]
	v_mov_b32_e32 v9, s15
	s_or_b64 s[12:13], s[2:3], s[12:13]
	s_waitcnt lgkmcnt(0)
	v_add_u32_e32 v5, v43, v5
	v_add_u32_e32 v4, v42, v4
	;; [unrolled: 1-line block ×4, first 2 shown]
	s_andn2_b64 exec, exec, s[12:13]
	s_cbranch_execnz .LBB4_4
; %bb.5:
	s_or_b64 exec, exec, s[12:13]
.LBB4_6:
	s_or_b64 exec, exec, s[10:11]
	v_and_b32_e32 v3, 7, v3
	v_cmp_ne_u32_e64 s[2:3], 0, v3
	s_and_saveexec_b64 s[10:11], s[2:3]
	s_cbranch_execz .LBB4_10
; %bb.7:
	v_lshlrev_b32_e32 v8, 2, v9
	s_mov_b64 s[12:13], 0
.LBB4_8:                                ; =>This Inner Loop Header: Depth=1
	ds_read_b128 v[10:13], v8
	v_add_u32_e32 v3, -1, v3
	v_cmp_eq_u32_e64 s[2:3], 0, v3
	v_add_u32_e32 v8, 16, v8
	s_or_b64 s[12:13], s[2:3], s[12:13]
	s_waitcnt lgkmcnt(0)
	v_add_u32_e32 v5, v11, v5
	v_add_u32_e32 v4, v10, v4
	;; [unrolled: 1-line block ×4, first 2 shown]
	s_andn2_b64 exec, exec, s[12:13]
	s_cbranch_execnz .LBB4_8
; %bb.9:
	s_or_b64 exec, exec, s[12:13]
.LBB4_10:
	s_or_b64 exec, exec, s[10:11]
	v_and_b32_e32 v3, 0xfc, v0
	v_add_u32_e32 v5, v7, v5
	v_cmp_ne_u32_e64 s[2:3], v0, v3
	v_add3_u32 v6, v6, v4, v5
	s_orn2_b64 s[10:11], s[2:3], exec
.LBB4_11:
	s_or_b64 exec, exec, s[8:9]
	s_and_saveexec_b64 s[8:9], s[10:11]
	s_cbranch_execz .LBB4_15
; %bb.12:
	v_sub_u32_e32 v4, v0, v3
	v_lshlrev_b32_e32 v3, 2, v3
	s_mov_b64 s[10:11], 0
.LBB4_13:                               ; =>This Inner Loop Header: Depth=1
	ds_read_b32 v5, v3
	v_add_u32_e32 v4, -1, v4
	v_cmp_eq_u32_e64 s[2:3], 0, v4
	v_add_u32_e32 v3, 4, v3
	s_or_b64 s[10:11], s[2:3], s[10:11]
	s_waitcnt lgkmcnt(0)
	v_add_u32_e32 v6, v5, v6
	s_andn2_b64 exec, exec, s[10:11]
	s_cbranch_execnz .LBB4_13
; %bb.14:
	s_or_b64 exec, exec, s[10:11]
.LBB4_15:
	s_or_b64 exec, exec, s[8:9]
.LBB4_16:
	s_or_b64 exec, exec, s[6:7]
	s_load_dwordx4 s[28:31], s[4:5], 0x18
	s_load_dwordx16 s[8:23], s[4:5], 0x38
	s_load_dwordx2 s[38:39], s[4:5], 0x90
	s_mul_i32 s2, s34, s25
	s_ashr_i32 s3, s2, 31
	s_waitcnt lgkmcnt(0)
	s_ashr_i32 s41, s30, 31
	s_mov_b32 s40, s30
	s_mul_i32 s30, s33, s34
	s_ashr_i32 s35, s34, 31
	s_mul_hi_i32 s43, s31, s34
	s_mul_i32 s42, s31, s34
	s_ashr_i32 s31, s30, 31
	s_lshl_b64 s[2:3], s[2:3], 2
	s_add_u32 s2, s18, s2
	v_ashrrev_i32_e32 v7, 31, v6
	s_addc_u32 s3, s19, s3
	v_lshlrev_b64 v[14:15], 2, v[6:7]
	s_mul_i32 s6, s34, s13
	s_mul_hi_u32 s7, s34, s12
	v_mov_b32_e32 v3, s3
	v_add_co_u32_e64 v4, s[2:3], s2, v14
	s_add_i32 s6, s7, s6
	s_mul_i32 s7, s35, s12
	v_addc_co_u32_e64 v5, s[2:3], v3, v15, s[2:3]
	s_add_i32 s19, s6, s7
	s_mul_i32 s18, s34, s12
	v_cmp_lt_i32_e64 s[2:3], 0, v16
	s_and_saveexec_b64 s[6:7], s[2:3]
	s_cbranch_execz .LBB4_22
; %bb.17:
	s_load_dwordx4 s[44:47], s[4:5], 0x28
	v_mov_b32_e32 v7, s39
	s_waitcnt lgkmcnt(0)
	s_ashr_i32 s3, s46, 31
	s_mov_b32 s2, s46
	s_mul_hi_i32 s13, s34, s47
	s_mul_i32 s12, s34, s47
	s_lshl_b64 s[12:13], s[12:13], 2
	s_lshl_b64 s[2:3], s[2:3], 2
	s_add_u32 s2, s12, s2
	s_addc_u32 s3, s13, s3
	s_add_u32 s2, s44, s2
	s_addc_u32 s3, s45, s3
	v_mov_b32_e32 v2, s3
	v_add_co_u32_e64 v8, s[2:3], s2, v14
	v_addc_co_u32_e64 v9, s[2:3], v2, v15, s[2:3]
	s_lshl_b64 s[2:3], s[42:43], 2
	s_lshl_b64 s[12:13], s[40:41], 2
	s_add_u32 s2, s2, s12
	s_addc_u32 s3, s3, s13
	s_add_u32 s2, s28, s2
	s_addc_u32 s3, s29, s3
	v_mov_b32_e32 v2, s3
	v_add_co_u32_e64 v10, s[2:3], s2, v14
	v_addc_co_u32_e64 v11, s[2:3], v2, v15, s[2:3]
	s_lshl_b64 s[2:3], s[30:31], 2
	s_add_u32 s2, s22, s2
	s_addc_u32 s3, s23, s3
	v_mov_b32_e32 v2, s3
	v_add_co_u32_e64 v12, s[2:3], s2, v14
	v_addc_co_u32_e64 v13, s[2:3], v2, v15, s[2:3]
	s_lshl_b64 s[2:3], s[18:19], 2
	s_add_u32 s2, s10, s2
	s_addc_u32 s3, s11, s3
	v_mov_b32_e32 v2, s3
	v_add_co_u32_e64 v14, s[2:3], s2, v14
	v_addc_co_u32_e64 v15, s[2:3], v2, v15, s[2:3]
	s_mov_b64 s[12:13], 0
	v_mov_b32_e32 v2, 0
	s_branch .LBB4_19
.LBB4_18:                               ;   in Loop: Header=BB4_19 Depth=1
	s_or_b64 exec, exec, s[44:45]
	v_add_co_u32_e64 v8, s[2:3], 4, v8
	v_addc_co_u32_e64 v9, s[2:3], 0, v9, s[2:3]
	v_add_co_u32_e64 v10, s[2:3], 4, v10
	v_addc_co_u32_e64 v11, s[2:3], 0, v11, s[2:3]
	global_store_dword v[12:13], v17, off
	global_store_dword v[14:15], v3, off
	v_add_co_u32_e64 v12, s[2:3], 4, v12
	v_add_u32_e32 v16, -1, v16
	v_addc_co_u32_e64 v13, s[2:3], 0, v13, s[2:3]
	v_cmp_eq_u32_e64 s[2:3], 0, v16
	s_or_b64 s[12:13], s[2:3], s[12:13]
	v_add_co_u32_e64 v14, s[2:3], 4, v14
	v_add_u32_e32 v6, 1, v6
	v_addc_co_u32_e64 v15, s[2:3], 0, v15, s[2:3]
	s_andn2_b64 exec, exec, s[12:13]
	s_cbranch_execz .LBB4_21
.LBB4_19:                               ; =>This Inner Loop Header: Depth=1
	global_load_dword v3, v[8:9], off
	global_load_dwordx2 v[18:19], v[10:11], off
	s_waitcnt vmcnt(1)
	v_mul_f32_e32 v17, v3, v3
	s_waitcnt vmcnt(0)
	v_mul_f32_e32 v18, v18, v19
	v_mul_f32_e64 v18, |v18|, s38
	v_fma_f32 v18, s38, v18, v7
	v_cmp_gt_f32_e64 s[2:3], v18, v17
	s_and_saveexec_b64 s[44:45], s[2:3]
	s_cbranch_execz .LBB4_18
; %bb.20:                               ;   in Loop: Header=BB4_19 Depth=1
	v_ashrrev_i32_e32 v3, 31, v2
	v_add_u32_e32 v18, 1, v2
	v_lshlrev_b64 v[2:3], 2, v[2:3]
	v_add_co_u32_e64 v2, s[2:3], v4, v2
	v_addc_co_u32_e64 v3, s[2:3], v5, v3, s[2:3]
	global_store_dword v[2:3], v6, off
	v_mov_b32_e32 v17, 0
	v_mov_b32_e32 v3, 0
	v_mov_b32_e32 v2, v18
	s_branch .LBB4_18
.LBB4_21:
	s_or_b64 exec, exec, s[12:13]
.LBB4_22:
	s_or_b64 exec, exec, s[6:7]
	v_mov_b32_e32 v6, 0
	ds_write_b32 v1, v2
	s_waitcnt lgkmcnt(0)
	s_barrier
	s_and_saveexec_b64 s[2:3], vcc
	s_cbranch_execz .LBB4_38
; %bb.23:
	v_cmp_lt_u32_e32 vcc, 3, v0
	s_mov_b64 s[12:13], -1
	s_mov_b32 s44, 0
	v_mov_b32_e32 v6, 0
	v_mov_b32_e32 v3, 0
	s_and_saveexec_b64 s[6:7], vcc
	s_cbranch_execz .LBB4_33
; %bb.24:
	v_add_u32_e32 v6, -4, v0
	v_lshrrev_b32_e32 v3, 2, v6
	s_mov_b32 s45, s44
	v_add_u32_e32 v3, 1, v3
	v_cmp_lt_u32_e32 vcc, 27, v6
	v_pk_mov_b32 v[8:9], s[44:45], s[44:45] op_sel:[0,1]
	v_mov_b32_e32 v11, 0
	v_pk_mov_b32 v[6:7], s[44:45], s[44:45] op_sel:[0,1]
	s_and_saveexec_b64 s[12:13], vcc
	s_cbranch_execz .LBB4_28
; %bb.25:
	v_and_b32_e32 v10, 0x7ffffff8, v3
	s_mov_b32 s46, 0
	s_mov_b32 s47, 0
	s_mov_b64 s[44:45], 0
	v_mov_b32_e32 v6, 0
	v_mov_b32_e32 v7, 0
	;; [unrolled: 1-line block ×4, first 2 shown]
.LBB4_26:                               ; =>This Inner Loop Header: Depth=1
	v_mov_b32_e32 v11, s46
	ds_read_b128 v[12:15], v11
	ds_read_b128 v[16:19], v11 offset:16
	ds_read_b128 v[20:23], v11 offset:32
	;; [unrolled: 1-line block ×7, first 2 shown]
	s_waitcnt lgkmcnt(7)
	v_add_u32_e32 v6, v12, v6
	v_add_u32_e32 v7, v13, v7
	v_add_u32_e32 v8, v14, v8
	v_add_u32_e32 v9, v15, v9
	s_waitcnt lgkmcnt(6)
	v_add_u32_e32 v7, v17, v7
	v_add_u32_e32 v6, v16, v6
	v_add_u32_e32 v9, v19, v9
	v_add_u32_e32 v8, v18, v8
	;; [unrolled: 5-line block ×5, first 2 shown]
	v_add_u32_e32 v10, -8, v10
	s_waitcnt lgkmcnt(2)
	v_add_u32_e32 v7, v33, v7
	v_add_u32_e32 v6, v32, v6
	;; [unrolled: 1-line block ×4, first 2 shown]
	s_add_i32 s47, s47, 32
	s_addk_i32 s46, 0x80
	v_cmp_eq_u32_e32 vcc, 0, v10
	s_waitcnt lgkmcnt(1)
	v_add_u32_e32 v6, v36, v6
	v_add_u32_e32 v7, v37, v7
	;; [unrolled: 1-line block ×4, first 2 shown]
	v_mov_b32_e32 v11, s47
	s_or_b64 s[44:45], vcc, s[44:45]
	s_waitcnt lgkmcnt(0)
	v_add_u32_e32 v7, v41, v7
	v_add_u32_e32 v6, v40, v6
	;; [unrolled: 1-line block ×4, first 2 shown]
	s_andn2_b64 exec, exec, s[44:45]
	s_cbranch_execnz .LBB4_26
; %bb.27:
	s_or_b64 exec, exec, s[44:45]
.LBB4_28:
	s_or_b64 exec, exec, s[12:13]
	v_and_b32_e32 v3, 7, v3
	v_cmp_ne_u32_e32 vcc, 0, v3
	s_and_saveexec_b64 s[12:13], vcc
	s_cbranch_execz .LBB4_32
; %bb.29:
	v_lshlrev_b32_e32 v10, 2, v11
	s_mov_b64 s[44:45], 0
.LBB4_30:                               ; =>This Inner Loop Header: Depth=1
	ds_read_b128 v[12:15], v10
	v_add_u32_e32 v3, -1, v3
	v_cmp_eq_u32_e32 vcc, 0, v3
	v_add_u32_e32 v10, 16, v10
	s_or_b64 s[44:45], vcc, s[44:45]
	s_waitcnt lgkmcnt(0)
	v_add_u32_e32 v7, v13, v7
	v_add_u32_e32 v6, v12, v6
	;; [unrolled: 1-line block ×4, first 2 shown]
	s_andn2_b64 exec, exec, s[44:45]
	s_cbranch_execnz .LBB4_30
; %bb.31:
	s_or_b64 exec, exec, s[44:45]
.LBB4_32:
	s_or_b64 exec, exec, s[12:13]
	v_and_b32_e32 v3, 0xfc, v0
	v_add_u32_e32 v7, v9, v7
	v_cmp_ne_u32_e32 vcc, v0, v3
	v_add3_u32 v6, v8, v6, v7
	s_orn2_b64 s[12:13], vcc, exec
.LBB4_33:
	s_or_b64 exec, exec, s[6:7]
	s_and_saveexec_b64 s[6:7], s[12:13]
	s_cbranch_execz .LBB4_37
; %bb.34:
	v_sub_u32_e32 v7, v0, v3
	v_lshlrev_b32_e32 v3, 2, v3
	s_mov_b64 s[12:13], 0
.LBB4_35:                               ; =>This Inner Loop Header: Depth=1
	ds_read_b32 v8, v3
	v_add_u32_e32 v7, -1, v7
	v_cmp_eq_u32_e32 vcc, 0, v7
	v_add_u32_e32 v3, 4, v3
	s_or_b64 s[12:13], vcc, s[12:13]
	s_waitcnt lgkmcnt(0)
	v_add_u32_e32 v6, v8, v6
	s_andn2_b64 exec, exec, s[12:13]
	s_cbranch_execnz .LBB4_35
; %bb.36:
	s_or_b64 exec, exec, s[12:13]
.LBB4_37:
	s_or_b64 exec, exec, s[6:7]
.LBB4_38:
	s_or_b64 exec, exec, s[2:3]
	s_mul_i32 s2, s34, s17
	s_mul_hi_u32 s3, s34, s16
	s_add_i32 s2, s3, s2
	s_mul_i32 s3, s35, s16
	s_add_i32 s7, s2, s3
	s_mul_i32 s6, s34, s16
	v_cmp_lt_i32_e32 vcc, 0, v2
	s_and_saveexec_b64 s[2:3], vcc
	s_cbranch_execz .LBB4_41
; %bb.39:
	s_lshl_b64 s[12:13], s[6:7], 2
	v_ashrrev_i32_e32 v7, 31, v6
	s_add_u32 s12, s14, s12
	v_lshlrev_b64 v[8:9], 2, v[6:7]
	s_addc_u32 s13, s15, s13
	v_mov_b32_e32 v3, s13
	v_add_co_u32_e32 v8, vcc, s12, v8
	v_addc_co_u32_e32 v9, vcc, v3, v9, vcc
	s_mov_b64 s[12:13], 0
	v_mov_b32_e32 v3, v2
.LBB4_40:                               ; =>This Inner Loop Header: Depth=1
	global_load_dword v7, v[4:5], off
	v_add_co_u32_e32 v4, vcc, 4, v4
	v_add_u32_e32 v3, -1, v3
	v_addc_co_u32_e32 v5, vcc, 0, v5, vcc
	v_cmp_eq_u32_e32 vcc, 0, v3
	s_or_b64 s[12:13], vcc, s[12:13]
	s_waitcnt vmcnt(0)
	v_add_u32_e32 v7, 1, v7
	global_store_dword v[8:9], v7, off
	v_add_co_u32_e32 v8, vcc, 4, v8
	v_addc_co_u32_e32 v9, vcc, 0, v9, vcc
	s_andn2_b64 exec, exec, s[12:13]
	s_cbranch_execnz .LBB4_40
.LBB4_41:
	s_or_b64 exec, exec, s[2:3]
	s_movk_i32 s2, 0xff
	v_cmp_eq_u32_e64 s[2:3], s2, v0
	s_and_saveexec_b64 s[12:13], s[2:3]
	s_cbranch_execz .LBB4_43
; %bb.42:
	s_lshl_b64 s[16:17], s[34:35], 2
	s_add_u32 s8, s8, s16
	s_addc_u32 s9, s9, s17
	s_lshl_b64 s[6:7], s[6:7], 2
	v_add_u32_e32 v2, v6, v2
	s_add_u32 s6, s14, s6
	v_ashrrev_i32_e32 v3, 31, v2
	s_addc_u32 s7, s15, s7
	v_lshlrev_b64 v[4:5], 2, v[2:3]
	v_mov_b32_e32 v3, s7
	v_add_co_u32_e32 v4, vcc, s6, v4
	v_addc_co_u32_e32 v5, vcc, v3, v5, vcc
	v_mov_b32_e32 v3, s25
	v_mov_b32_e32 v7, 0
	v_add_u32_e32 v2, 1, v2
	global_store_dword v[4:5], v3, off
	global_store_dword v7, v2, s[8:9]
.LBB4_43:
	s_or_b64 exec, exec, s[12:13]
	v_cmp_gt_i32_e32 vcc, s33, v0
	v_bfrev_b32_e32 v5, -2
	v_mov_b32_e32 v4, 0
	s_barrier
	s_and_saveexec_b64 s[8:9], vcc
	s_cbranch_execz .LBB4_47
; %bb.44:
	s_lshl_b64 s[6:7], s[30:31], 2
	s_add_u32 s6, s22, s6
	s_addc_u32 s7, s23, s7
	v_mov_b32_e32 v3, s7
	v_add_co_u32_e32 v2, vcc, s6, v1
	v_mov_b32_e32 v4, 0
	v_addc_co_u32_e32 v3, vcc, 0, v3, vcc
	s_mov_b64 s[12:13], 0
	v_bfrev_b32_e32 v5, -2
	s_brev_b32 s14, -2
	v_mov_b32_e32 v6, v0
.LBB4_45:                               ; =>This Inner Loop Header: Depth=1
	global_load_dword v7, v[2:3], off
	v_add_co_u32_e32 v2, vcc, 0x400, v2
	v_cmp_eq_u32_e64 s[6:7], s14, v5
	v_add_u32_e32 v8, 1, v6
	v_add_u32_e32 v6, 0x100, v6
	v_addc_co_u32_e32 v3, vcc, 0, v3, vcc
	v_cmp_le_i32_e32 vcc, s33, v6
	s_waitcnt vmcnt(0)
	v_cmp_lt_f32_e64 s[16:17], v4, |v7|
	s_or_b64 s[6:7], s[16:17], s[6:7]
	v_cndmask_b32_e64 v4, v4, |v7|, s[6:7]
	s_or_b64 s[12:13], vcc, s[12:13]
	v_cndmask_b32_e64 v5, v5, v8, s[6:7]
	s_andn2_b64 exec, exec, s[12:13]
	s_cbranch_execnz .LBB4_45
; %bb.46:
	s_or_b64 exec, exec, s[12:13]
.LBB4_47:
	s_or_b64 exec, exec, s[8:9]
	s_cmp_lt_i32 s25, 3
	ds_write_b32 v1, v4 offset:1024
	ds_write_b32 v1, v5
	s_waitcnt lgkmcnt(0)
	s_barrier
	s_cbranch_scc1 .LBB4_82
; %bb.48:
	s_movk_i32 s6, 0x80
	v_or_b32_e32 v2, 0x400, v1
	v_cmp_gt_u32_e32 vcc, s6, v0
	s_and_saveexec_b64 s[8:9], vcc
	s_cbranch_execz .LBB4_54
; %bb.49:
	ds_read_b32 v3, v2 offset:512
	ds_read_b32 v6, v1 offset:512
	s_waitcnt lgkmcnt(1)
	v_cmp_lt_f32_e64 s[12:13], v4, v3
	v_cmp_nlt_f32_e32 vcc, v4, v3
	s_and_saveexec_b64 s[14:15], vcc
	s_cbranch_execz .LBB4_51
; %bb.50:
	v_cmp_eq_f32_e32 vcc, v4, v3
	s_waitcnt lgkmcnt(0)
	v_cmp_gt_i32_e64 s[6:7], v5, v6
	s_and_b64 s[6:7], vcc, s[6:7]
	s_andn2_b64 s[12:13], s[12:13], exec
	s_and_b64 s[6:7], s[6:7], exec
	s_or_b64 s[12:13], s[12:13], s[6:7]
.LBB4_51:
	s_or_b64 exec, exec, s[14:15]
	s_and_saveexec_b64 s[6:7], s[12:13]
	s_cbranch_execz .LBB4_53
; %bb.52:
	s_waitcnt lgkmcnt(0)
	v_mov_b32_e32 v5, v6
	v_mov_b32_e32 v4, v3
	ds_write_b32 v2, v3
	ds_write_b32 v1, v6
.LBB4_53:
	s_or_b64 exec, exec, s[6:7]
.LBB4_54:
	s_or_b64 exec, exec, s[8:9]
	v_cmp_gt_u32_e32 vcc, 64, v0
	s_waitcnt lgkmcnt(0)
	s_barrier
	s_and_saveexec_b64 s[12:13], vcc
	s_cbranch_execz .LBB4_81
; %bb.55:
	ds_read_b32 v3, v2 offset:256
	ds_read_b32 v6, v1 offset:256
	s_waitcnt lgkmcnt(1)
	v_cmp_lt_f32_e64 s[8:9], v4, v3
	v_cmp_nlt_f32_e32 vcc, v4, v3
	s_and_saveexec_b64 s[14:15], vcc
	s_cbranch_execz .LBB4_57
; %bb.56:
	v_cmp_eq_f32_e32 vcc, v4, v3
	s_waitcnt lgkmcnt(0)
	v_cmp_gt_i32_e64 s[6:7], v5, v6
	s_and_b64 s[6:7], vcc, s[6:7]
	s_andn2_b64 s[8:9], s[8:9], exec
	s_and_b64 s[6:7], s[6:7], exec
	s_or_b64 s[8:9], s[8:9], s[6:7]
.LBB4_57:
	s_or_b64 exec, exec, s[14:15]
	s_and_saveexec_b64 s[6:7], s[8:9]
	s_cbranch_execz .LBB4_59
; %bb.58:
	v_mov_b32_e32 v4, v3
	s_waitcnt lgkmcnt(0)
	v_mov_b32_e32 v5, v6
	ds_write_b32 v2, v3
	ds_write_b32 v1, v6
.LBB4_59:
	s_or_b64 exec, exec, s[6:7]
	ds_read_b32 v3, v2 offset:128
	s_waitcnt lgkmcnt(1)
	ds_read_b32 v6, v1 offset:128
	s_waitcnt lgkmcnt(1)
	v_cmp_lt_f32_e64 s[8:9], v4, v3
	v_cmp_nlt_f32_e32 vcc, v4, v3
	s_and_saveexec_b64 s[14:15], vcc
	s_cbranch_execz .LBB4_61
; %bb.60:
	v_cmp_eq_f32_e32 vcc, v4, v3
	s_waitcnt lgkmcnt(0)
	v_cmp_gt_i32_e64 s[6:7], v5, v6
	s_and_b64 s[6:7], vcc, s[6:7]
	s_andn2_b64 s[8:9], s[8:9], exec
	s_and_b64 s[6:7], s[6:7], exec
	s_or_b64 s[8:9], s[8:9], s[6:7]
.LBB4_61:
	s_or_b64 exec, exec, s[14:15]
	s_and_saveexec_b64 s[6:7], s[8:9]
	s_cbranch_execz .LBB4_63
; %bb.62:
	v_mov_b32_e32 v4, v3
	s_waitcnt lgkmcnt(0)
	v_mov_b32_e32 v5, v6
	ds_write_b32 v2, v3
	ds_write_b32 v1, v6
.LBB4_63:
	s_or_b64 exec, exec, s[6:7]
	ds_read_b32 v3, v2 offset:64
	s_waitcnt lgkmcnt(1)
	;; [unrolled: 28-line block ×6, first 2 shown]
	ds_read_b32 v6, v1 offset:4
	s_waitcnt lgkmcnt(1)
	v_cmp_eq_f32_e64 s[6:7], v4, v3
	s_waitcnt lgkmcnt(0)
	v_cmp_gt_i32_e64 s[8:9], v5, v6
	v_cmp_lt_f32_e32 vcc, v4, v3
	s_and_b64 s[6:7], s[6:7], s[8:9]
	s_or_b64 s[6:7], vcc, s[6:7]
	s_and_b64 exec, exec, s[6:7]
	s_cbranch_execz .LBB4_81
; %bb.80:
	ds_write_b32 v2, v3
	ds_write_b32 v1, v6
.LBB4_81:
	s_or_b64 exec, exec, s[12:13]
.LBB4_82:
	v_mov_b32_e32 v1, 0
	s_waitcnt lgkmcnt(0)
	s_barrier
	ds_read_b32 v1, v1 offset:1024
	s_load_dwordx4 s[12:15], s[4:5], 0x78
	s_load_dwordx2 s[16:17], s[4:5], 0x88
	v_mov_b32_e32 v2, s39
	s_cmpk_lg_i32 s24, 0xe9
	v_mov_b32_e32 v3, s27
	s_waitcnt lgkmcnt(0)
	v_mul_f32_e32 v1, s39, v1
	v_cmp_gt_f32_e32 vcc, s39, v1
	v_cndmask_b32_e32 v6, v1, v2, vcc
	v_mov_b32_e32 v2, s26
	s_cbranch_scc0 .LBB4_85
; %bb.83:
	s_and_saveexec_b64 s[2:3], s[0:1]
	s_cbranch_execnz .LBB4_136
.LBB4_84:
	s_endpgm
.LBB4_85:
	s_lshl_b64 s[42:43], s[42:43], 2
	s_add_u32 s4, s28, s42
	s_addc_u32 s5, s29, s43
	s_lshl_b64 s[40:41], s[40:41], 2
	s_add_u32 s44, s4, s40
	s_addc_u32 s45, s5, s41
	;; [unrolled: 3-line block ×4, first 2 shown]
	s_lshl_b32 s10, s25, 1
	s_mul_i32 s4, s10, s34
	s_ashr_i32 s5, s4, 31
	s_lshl_b64 s[18:19], s[4:5], 2
	s_add_u32 s8, s14, s18
	s_addc_u32 s9, s15, s19
	s_add_u32 s22, s16, s18
	s_addc_u32 s23, s17, s19
	v_mov_b32_e32 v3, s27
	v_mov_b32_e32 v2, s26
	s_and_saveexec_b64 s[6:7], s[0:1]
	s_cbranch_execz .LBB4_93
; %bb.86:
	v_mov_b32_e32 v5, 0
	global_load_dword v1, v5, s[44:45]
	global_load_dword v3, v5, s[46:47]
	s_cmp_gt_i32 s25, 1
	s_cselect_b64 s[26:27], -1, 0
	s_cmp_lt_i32 s25, 2
	s_waitcnt vmcnt(0)
	v_sub_f32_e64 v2, v1, |v3|
	v_sub_f32_e32 v7, v1, v2
	v_cmp_le_f32_e32 vcc, v7, v6
	v_cndmask_b32_e64 v4, 0, 1, vcc
	s_cbranch_scc1 .LBB4_89
; %bb.87:
	v_cmp_gt_f32_e64 s[4:5], v7, -v6
	s_and_b64 s[4:5], vcc, s[4:5]
	v_cndmask_b32_e64 v7, v7, -v6, s[4:5]
	s_add_u32 s4, s42, s40
	s_addc_u32 s5, s43, s41
	s_add_u32 s4, s4, s28
	s_addc_u32 s5, s5, s29
	;; [unrolled: 2-line block ×3, first 2 shown]
	s_mov_b64 s[50:51], s[30:31]
	s_mov_b32 s11, s33
.LBB4_88:                               ; =>This Inner Loop Header: Depth=1
	global_load_dword v8, v5, s[48:49]
	global_load_dword v9, v5, s[50:51]
	s_add_i32 s11, s11, -1
	s_waitcnt vmcnt(1)
	v_sub_f32_e32 v8, v8, v2
	s_waitcnt vmcnt(0)
	v_div_scale_f32 v10, s[4:5], v7, v7, v9
	v_rcp_f32_e32 v12, v10
	v_div_scale_f32 v11, vcc, v9, v7, v9
	v_fma_f32 v13, -v10, v12, 1.0
	v_fmac_f32_e32 v12, v13, v12
	v_mul_f32_e32 v13, v11, v12
	v_fma_f32 v14, -v10, v13, v11
	v_fmac_f32_e32 v13, v14, v12
	v_fma_f32 v10, -v10, v13, v11
	v_div_fmas_f32 v10, v10, v12, v13
	v_div_fixup_f32 v7, v10, v7, v9
	v_sub_f32_e32 v7, v8, v7
	v_cmp_le_f32_e32 vcc, v7, v6
	v_cmp_gt_f32_e64 s[52:53], v7, -v6
	v_addc_co_u32_e64 v4, s[4:5], 0, v4, vcc
	s_and_b64 s[4:5], vcc, s[52:53]
	s_add_u32 s50, s50, 4
	s_addc_u32 s51, s51, 0
	s_add_u32 s48, s48, 4
	s_addc_u32 s49, s49, 0
	s_cmp_lg_u32 s11, 0
	v_cndmask_b32_e64 v7, v7, -v6, s[4:5]
	s_cbranch_scc1 .LBB4_88
.LBB4_89:
	v_and_b32_e32 v3, 0x7fffffff, v3
	v_add_f32_e32 v3, v1, v3
	v_sub_f32_e32 v1, v1, v3
	v_cmp_le_f32_e64 s[4:5], v1, v6
	s_andn2_b64 vcc, exec, s[26:27]
	v_cndmask_b32_e64 v5, 0, 1, s[4:5]
	s_cbranch_vccnz .LBB4_92
; %bb.90:
	v_cmp_gt_f32_e64 s[26:27], v1, -v6
	s_and_b64 s[4:5], s[4:5], s[26:27]
	v_cndmask_b32_e64 v7, v1, -v6, s[4:5]
	s_add_u32 s4, s42, s40
	s_addc_u32 s5, s43, s41
	s_add_u32 s4, s4, s28
	s_addc_u32 s5, s5, s29
	;; [unrolled: 2-line block ×3, first 2 shown]
	v_mov_b32_e32 v1, 0
	s_mov_b64 s[48:49], s[30:31]
	s_mov_b32 s11, s33
.LBB4_91:                               ; =>This Inner Loop Header: Depth=1
	global_load_dword v8, v1, s[26:27]
	global_load_dword v9, v1, s[48:49]
	s_add_i32 s11, s11, -1
	s_waitcnt vmcnt(1)
	v_sub_f32_e32 v8, v8, v3
	s_waitcnt vmcnt(0)
	v_div_scale_f32 v10, s[4:5], v7, v7, v9
	v_rcp_f32_e32 v12, v10
	v_div_scale_f32 v11, vcc, v9, v7, v9
	v_fma_f32 v13, -v10, v12, 1.0
	v_fmac_f32_e32 v12, v13, v12
	v_mul_f32_e32 v13, v11, v12
	v_fma_f32 v14, -v10, v13, v11
	v_fmac_f32_e32 v13, v14, v12
	v_fma_f32 v10, -v10, v13, v11
	v_div_fmas_f32 v10, v10, v12, v13
	v_div_fixup_f32 v7, v10, v7, v9
	v_sub_f32_e32 v7, v8, v7
	v_cmp_le_f32_e32 vcc, v7, v6
	v_cmp_gt_f32_e64 s[50:51], v7, -v6
	v_addc_co_u32_e64 v5, s[4:5], 0, v5, vcc
	s_and_b64 s[4:5], vcc, s[50:51]
	s_add_u32 s48, s48, 4
	s_addc_u32 s49, s49, 0
	s_add_u32 s26, s26, 4
	s_addc_u32 s27, s27, 0
	s_cmp_lg_u32 s11, 0
	v_cndmask_b32_e64 v7, v7, -v6, s[4:5]
	s_cbranch_scc1 .LBB4_91
.LBB4_92:
	v_mov_b32_e32 v1, 0
	global_store_dwordx2 v1, v[2:3], s[8:9]
	global_store_dwordx2 v1, v[4:5], s[22:23]
.LBB4_93:
	s_or_b64 exec, exec, s[6:7]
	v_add_u32_e32 v0, 1, v0
	v_cmp_gt_i32_e32 vcc, s33, v0
	s_and_saveexec_b64 s[26:27], vcc
	s_cbranch_execz .LBB4_103
; %bb.94:
	s_cmp_gt_i32 s25, 1
	s_cselect_b64 s[4:5], -1, 0
	s_add_u32 s11, s46, -4
	s_addc_u32 s6, s47, -1
	s_add_u32 s7, s42, s40
	s_addc_u32 s39, s43, s41
	s_add_u32 s7, s7, s28
	s_addc_u32 s39, s39, s29
	s_add_u32 s48, s7, 4
	v_cndmask_b32_e64 v2, 0, 1, s[4:5]
	s_addc_u32 s49, s39, 0
	s_mov_b64 s[50:51], 0
	v_mov_b32_e32 v1, 0
	v_mov_b32_e32 v7, s45
	;; [unrolled: 1-line block ×3, first 2 shown]
	v_cmp_ne_u32_e64 s[4:5], 1, v2
	v_mov_b32_e32 v9, s9
	v_mov_b32_e32 v10, s23
	s_branch .LBB4_96
.LBB4_95:                               ;   in Loop: Header=BB4_96 Depth=1
	v_lshlrev_b32_e32 v12, 1, v0
	v_mov_b32_e32 v13, v1
	v_lshlrev_b64 v[12:13], 2, v[12:13]
	v_add_co_u32_e32 v14, vcc, s8, v12
	v_addc_co_u32_e32 v15, vcc, v9, v13, vcc
	v_add_co_u32_e32 v12, vcc, s22, v12
	v_addc_co_u32_e32 v13, vcc, v10, v13, vcc
	v_add_u32_e32 v0, 0x100, v0
	v_cmp_le_i32_e32 vcc, s33, v0
	s_or_b64 s[50:51], vcc, s[50:51]
	global_store_dwordx2 v[14:15], v[2:3], off
	global_store_dwordx2 v[12:13], v[4:5], off
	s_andn2_b64 exec, exec, s[50:51]
	s_cbranch_execz .LBB4_102
.LBB4_96:                               ; =>This Loop Header: Depth=1
                                        ;     Child Loop BB4_98 Depth 2
                                        ;     Child Loop BB4_101 Depth 2
	v_lshlrev_b64 v[2:3], 2, v[0:1]
	v_add_co_u32_e32 v4, vcc, s44, v2
	v_addc_co_u32_e32 v5, vcc, v7, v3, vcc
	v_add_co_u32_e32 v2, vcc, s11, v2
	v_addc_co_u32_e32 v3, vcc, v8, v3, vcc
	global_load_dwordx2 v[12:13], v[2:3], off
	s_nop 0
	global_load_dword v3, v[4:5], off
	s_nop 0
	global_load_dword v5, v1, s[44:45]
	s_and_b64 vcc, exec, s[4:5]
	s_waitcnt vmcnt(2)
	v_add_f32_e64 v11, |v13|, |v12|
	s_waitcnt vmcnt(1)
	v_sub_f32_e32 v2, v3, v11
	s_waitcnt vmcnt(0)
	v_sub_f32_e32 v12, v5, v2
	v_cmp_le_f32_e64 s[6:7], v12, v6
	v_cndmask_b32_e64 v4, 0, 1, s[6:7]
	s_cbranch_vccnz .LBB4_99
; %bb.97:                               ;   in Loop: Header=BB4_96 Depth=1
	v_cmp_gt_f32_e64 s[52:53], v12, -v6
	s_and_b64 s[6:7], s[6:7], s[52:53]
	v_cndmask_b32_e64 v12, v12, -v6, s[6:7]
	s_mov_b64 s[52:53], s[48:49]
	s_mov_b64 s[54:55], s[30:31]
	s_mov_b32 s39, s33
.LBB4_98:                               ;   Parent Loop BB4_96 Depth=1
                                        ; =>  This Inner Loop Header: Depth=2
	global_load_dword v13, v1, s[52:53]
	global_load_dword v14, v1, s[54:55]
	s_add_i32 s39, s39, -1
	s_waitcnt vmcnt(1)
	v_sub_f32_e32 v13, v13, v2
	s_waitcnt vmcnt(0)
	v_div_scale_f32 v15, s[6:7], v12, v12, v14
	v_rcp_f32_e32 v17, v15
	v_div_scale_f32 v16, vcc, v14, v12, v14
	v_fma_f32 v18, -v15, v17, 1.0
	v_fmac_f32_e32 v17, v18, v17
	v_mul_f32_e32 v18, v16, v17
	v_fma_f32 v19, -v15, v18, v16
	v_fmac_f32_e32 v18, v19, v17
	v_fma_f32 v15, -v15, v18, v16
	v_div_fmas_f32 v15, v15, v17, v18
	v_div_fixup_f32 v12, v15, v12, v14
	v_sub_f32_e32 v12, v13, v12
	v_cmp_le_f32_e32 vcc, v12, v6
	v_cmp_gt_f32_e64 s[56:57], v12, -v6
	v_addc_co_u32_e64 v4, s[6:7], 0, v4, vcc
	s_and_b64 s[6:7], vcc, s[56:57]
	s_add_u32 s54, s54, 4
	s_addc_u32 s55, s55, 0
	s_add_u32 s52, s52, 4
	s_addc_u32 s53, s53, 0
	s_cmp_lg_u32 s39, 0
	v_cndmask_b32_e64 v12, v12, -v6, s[6:7]
	s_cbranch_scc1 .LBB4_98
.LBB4_99:                               ;   in Loop: Header=BB4_96 Depth=1
	v_add_f32_e32 v3, v3, v11
	v_sub_f32_e32 v11, v5, v3
	v_cmp_le_f32_e64 s[6:7], v11, v6
	s_and_b64 vcc, exec, s[4:5]
	v_cndmask_b32_e64 v5, 0, 1, s[6:7]
	s_cbranch_vccnz .LBB4_95
; %bb.100:                              ;   in Loop: Header=BB4_96 Depth=1
	v_cmp_gt_f32_e64 s[52:53], v11, -v6
	s_and_b64 s[6:7], s[6:7], s[52:53]
	v_cndmask_b32_e64 v11, v11, -v6, s[6:7]
	s_mov_b64 s[52:53], s[48:49]
	s_mov_b64 s[54:55], s[30:31]
	s_mov_b32 s39, s33
.LBB4_101:                              ;   Parent Loop BB4_96 Depth=1
                                        ; =>  This Inner Loop Header: Depth=2
	global_load_dword v12, v1, s[52:53]
	global_load_dword v13, v1, s[54:55]
	s_add_i32 s39, s39, -1
	s_waitcnt vmcnt(1)
	v_sub_f32_e32 v12, v12, v3
	s_waitcnt vmcnt(0)
	v_div_scale_f32 v14, s[6:7], v11, v11, v13
	v_rcp_f32_e32 v16, v14
	v_div_scale_f32 v15, vcc, v13, v11, v13
	v_fma_f32 v17, -v14, v16, 1.0
	v_fmac_f32_e32 v16, v17, v16
	v_mul_f32_e32 v17, v15, v16
	v_fma_f32 v18, -v14, v17, v15
	v_fmac_f32_e32 v17, v18, v16
	v_fma_f32 v14, -v14, v17, v15
	v_div_fmas_f32 v14, v14, v16, v17
	v_div_fixup_f32 v11, v14, v11, v13
	v_sub_f32_e32 v11, v12, v11
	v_cmp_le_f32_e32 vcc, v11, v6
	v_cmp_gt_f32_e64 s[56:57], v11, -v6
	v_addc_co_u32_e64 v5, s[6:7], 0, v5, vcc
	s_and_b64 s[6:7], vcc, s[56:57]
	s_add_u32 s54, s54, 4
	s_addc_u32 s55, s55, 0
	s_add_u32 s52, s52, 4
	s_addc_u32 s53, s53, 0
	s_cmp_lg_u32 s39, 0
	v_cndmask_b32_e64 v11, v11, -v6, s[6:7]
	s_cbranch_scc1 .LBB4_101
	s_branch .LBB4_95
.LBB4_102:
	s_or_b64 exec, exec, s[50:51]
.LBB4_103:
	s_or_b64 exec, exec, s[26:27]
	s_and_saveexec_b64 s[4:5], s[2:3]
	s_cbranch_execz .LBB4_111
; %bb.104:
	s_ashr_i32 s3, s25, 31
	s_mov_b32 s2, s25
	s_lshl_b64 s[2:3], s[2:3], 2
	s_add_u32 s6, s44, s2
	s_addc_u32 s7, s45, s3
	s_add_u32 s2, s46, s2
	v_mov_b32_e32 v5, 0
	s_addc_u32 s3, s47, s3
	global_load_dword v3, v5, s[2:3] offset:-8
	global_load_dword v1, v5, s[6:7] offset:-4
	global_load_dword v4, v5, s[44:45]
	s_cmp_gt_i32 s25, 1
	s_cselect_b64 s[6:7], -1, 0
	s_cmp_lt_i32 s25, 2
	s_waitcnt vmcnt(1)
	v_sub_f32_e64 v2, v1, |v3|
	s_waitcnt vmcnt(0)
	v_sub_f32_e32 v7, v4, v2
	v_cmp_le_f32_e32 vcc, v7, v6
	v_cndmask_b32_e64 v0, 0, 1, vcc
	s_cbranch_scc1 .LBB4_107
; %bb.105:
	v_cmp_gt_f32_e64 s[2:3], v7, -v6
	s_and_b64 s[2:3], vcc, s[2:3]
	v_cndmask_b32_e64 v7, v7, -v6, s[2:3]
	s_add_u32 s2, s42, s40
	s_addc_u32 s3, s43, s41
	s_add_u32 s2, s2, s28
	s_addc_u32 s3, s3, s29
	;; [unrolled: 2-line block ×3, first 2 shown]
	s_mov_b64 s[44:45], s[30:31]
	s_mov_b32 s11, s33
.LBB4_106:                              ; =>This Inner Loop Header: Depth=1
	global_load_dword v8, v5, s[26:27]
	global_load_dword v9, v5, s[44:45]
	s_add_i32 s11, s11, -1
	s_waitcnt vmcnt(1)
	v_sub_f32_e32 v8, v8, v2
	s_waitcnt vmcnt(0)
	v_div_scale_f32 v10, s[2:3], v7, v7, v9
	v_rcp_f32_e32 v12, v10
	v_div_scale_f32 v11, vcc, v9, v7, v9
	v_fma_f32 v13, -v10, v12, 1.0
	v_fmac_f32_e32 v12, v13, v12
	v_mul_f32_e32 v13, v11, v12
	v_fma_f32 v14, -v10, v13, v11
	v_fmac_f32_e32 v13, v14, v12
	v_fma_f32 v10, -v10, v13, v11
	v_div_fmas_f32 v10, v10, v12, v13
	v_div_fixup_f32 v7, v10, v7, v9
	v_sub_f32_e32 v7, v8, v7
	v_cmp_le_f32_e32 vcc, v7, v6
	v_cmp_gt_f32_e64 s[46:47], v7, -v6
	v_addc_co_u32_e64 v0, s[2:3], 0, v0, vcc
	s_and_b64 s[2:3], vcc, s[46:47]
	s_add_u32 s44, s44, 4
	s_addc_u32 s45, s45, 0
	s_add_u32 s26, s26, 4
	s_addc_u32 s27, s27, 0
	s_cmp_lg_u32 s11, 0
	v_cndmask_b32_e64 v7, v7, -v6, s[2:3]
	s_cbranch_scc1 .LBB4_106
.LBB4_107:
	v_and_b32_e32 v3, 0x7fffffff, v3
	v_add_f32_e32 v3, v1, v3
	v_sub_f32_e32 v4, v4, v3
	v_cmp_le_f32_e64 s[2:3], v4, v6
	s_andn2_b64 vcc, exec, s[6:7]
	v_cndmask_b32_e64 v1, 0, 1, s[2:3]
	s_cbranch_vccnz .LBB4_110
; %bb.108:
	v_cmp_gt_f32_e64 s[6:7], v4, -v6
	s_and_b64 s[2:3], s[2:3], s[6:7]
	v_cndmask_b32_e64 v5, v4, -v6, s[2:3]
	s_add_u32 s2, s42, s40
	s_addc_u32 s3, s43, s41
	s_add_u32 s2, s2, s28
	s_addc_u32 s3, s3, s29
	;; [unrolled: 2-line block ×3, first 2 shown]
	v_mov_b32_e32 v4, 0
.LBB4_109:                              ; =>This Inner Loop Header: Depth=1
	global_load_dword v7, v4, s[6:7]
	global_load_dword v8, v4, s[30:31]
	s_add_i32 s33, s33, -1
	s_waitcnt vmcnt(1)
	v_sub_f32_e32 v7, v7, v3
	s_waitcnt vmcnt(0)
	v_div_scale_f32 v9, s[2:3], v5, v5, v8
	v_rcp_f32_e32 v11, v9
	v_div_scale_f32 v10, vcc, v8, v5, v8
	v_fma_f32 v12, -v9, v11, 1.0
	v_fmac_f32_e32 v11, v12, v11
	v_mul_f32_e32 v12, v10, v11
	v_fma_f32 v13, -v9, v12, v10
	v_fmac_f32_e32 v12, v13, v11
	v_fma_f32 v9, -v9, v12, v10
	v_div_fmas_f32 v9, v9, v11, v12
	v_div_fixup_f32 v5, v9, v5, v8
	v_sub_f32_e32 v5, v7, v5
	v_cmp_le_f32_e32 vcc, v5, v6
	v_cmp_gt_f32_e64 s[26:27], v5, -v6
	v_addc_co_u32_e64 v1, s[2:3], 0, v1, vcc
	s_and_b64 s[2:3], vcc, s[26:27]
	s_add_u32 s30, s30, 4
	s_addc_u32 s31, s31, 0
	s_add_u32 s6, s6, 4
	s_addc_u32 s7, s7, 0
	s_cmp_lg_u32 s33, 0
	v_cndmask_b32_e64 v5, v5, -v6, s[2:3]
	s_cbranch_scc1 .LBB4_109
.LBB4_110:
	s_ashr_i32 s11, s10, 31
	s_lshl_b64 s[2:3], s[10:11], 2
	s_add_u32 s6, s8, s2
	s_addc_u32 s7, s9, s3
	v_mov_b32_e32 v4, 0
	s_add_u32 s2, s22, s2
	s_addc_u32 s3, s23, s3
	global_store_dwordx2 v4, v[2:3], s[6:7] offset:-8
	global_store_dwordx2 v4, v[0:1], s[2:3] offset:-8
.LBB4_111:
	s_or_b64 exec, exec, s[4:5]
	s_barrier
	s_and_saveexec_b64 s[6:7], s[0:1]
	s_cbranch_execz .LBB4_135
; %bb.112:
	s_cmp_gt_i32 s25, 0
	s_cselect_b64 s[4:5], -1, 0
	s_cmp_lt_i32 s25, 1
	s_mov_b32 s26, 1
	s_cbranch_scc1 .LBB4_120
; %bb.113:
	s_cmp_lg_u64 s[16:17], 0
	s_cselect_b64 s[2:3], -1, 0
	s_add_u32 s11, s8, -4
	s_addc_u32 s33, s9, -1
	s_add_u32 s39, s22, -4
	s_addc_u32 s44, s23, -1
	s_add_u32 s14, s18, s14
	s_addc_u32 s15, s19, s15
	s_add_u32 s14, s14, 4
	v_cndmask_b32_e64 v1, 0, 1, s[2:3]
	s_addc_u32 s15, s15, 0
	v_mov_b32_e32 v0, 0
	v_cmp_ne_u32_e64 s[2:3], 1, v1
	s_branch .LBB4_115
.LBB4_114:                              ;   in Loop: Header=BB4_115 Depth=1
	s_add_i32 s26, s26, 1
	s_add_u32 s14, s14, 4
	s_addc_u32 s15, s15, 0
	s_cmp_lg_u32 s26, s10
	s_cbranch_scc0 .LBB4_120
.LBB4_115:                              ; =>This Loop Header: Depth=1
                                        ;     Child Loop BB4_116 Depth 2
	s_ashr_i32 s27, s26, 31
	s_add_i32 s41, s26, -1
	s_lshl_b64 s[28:29], s[26:27], 2
	s_add_u32 s30, s11, s28
	s_addc_u32 s31, s33, s29
	global_load_dword v1, v0, s[30:31]
	s_mov_b64 s[42:43], s[14:15]
	s_mov_b32 s27, s26
	s_mov_b32 s40, s41
	s_waitcnt vmcnt(0)
	v_mov_b32_e32 v2, v1
.LBB4_116:                              ;   Parent Loop BB4_115 Depth=1
                                        ; =>  This Inner Loop Header: Depth=2
	global_load_dword v3, v0, s[42:43]
	s_waitcnt vmcnt(0)
	v_cmp_lt_f32_e32 vcc, v3, v2
	s_and_b64 s[46:47], vcc, exec
	s_cselect_b32 s40, s27, s40
	s_add_i32 s27, s27, 1
	s_add_u32 s42, s42, 4
	s_addc_u32 s43, s43, 0
	v_cndmask_b32_e32 v2, v2, v3, vcc
	s_cmp_ge_i32 s27, s10
	s_cbranch_scc0 .LBB4_116
; %bb.117:                              ;   in Loop: Header=BB4_115 Depth=1
	s_cmp_lg_u32 s40, s41
	s_cbranch_scc0 .LBB4_114
; %bb.118:                              ;   in Loop: Header=BB4_115 Depth=1
	s_ashr_i32 s41, s40, 31
	s_lshl_b64 s[40:41], s[40:41], 2
	s_add_u32 s42, s8, s40
	s_addc_u32 s43, s9, s41
	s_and_b64 vcc, exec, s[2:3]
	global_store_dword v0, v1, s[42:43]
	global_store_dword v0, v2, s[30:31]
	s_cbranch_vccnz .LBB4_114
; %bb.119:                              ;   in Loop: Header=BB4_115 Depth=1
	s_add_u32 s28, s39, s28
	s_addc_u32 s29, s44, s29
	s_add_u32 s30, s22, s40
	s_addc_u32 s31, s23, s41
	global_load_dword v1, v0, s[28:29]
	global_load_dword v2, v0, s[30:31]
	s_waitcnt vmcnt(1)
	global_store_dword v0, v1, s[30:31]
	s_waitcnt vmcnt(1)
	global_store_dword v0, v2, s[28:29]
	s_branch .LBB4_114
.LBB4_120:
	s_ashr_i32 s11, s10, 31
	s_lshl_b64 s[2:3], s[10:11], 2
	v_mov_b32_e32 v0, 0
	s_add_u32 s14, s8, s2
	s_addc_u32 s15, s9, s3
	global_load_dword v1, v0, s[8:9]
	global_load_dword v2, v0, s[14:15] offset:-4
	v_cvt_f32_i32_e32 v3, s25
	v_cndmask_b32_e64 v4, 0, 1, s[4:5]
	s_andn2_b64 vcc, exec, s[4:5]
	v_cmp_ne_u32_e64 s[2:3], 1, v4
	s_waitcnt vmcnt(0)
	v_cmp_lt_f32_e64 s[4:5], |v1|, |v2|
	v_cndmask_b32_e64 v4, v1, v2, s[4:5]
	v_mul_f32_e64 v4, |v4|, s38
	v_fma_f32 v1, -v4, v3, v1
	v_fmac_f32_e32 v2, v4, v3
	v_sub_f32_e32 v1, v1, v6
	v_add_f32_e32 v2, v6, v2
	global_store_dword v0, v1, s[8:9]
	global_store_dword v0, v2, s[14:15] offset:-4
	s_cbranch_vccnz .LBB4_126
; %bb.121:
	s_max_i32 s11, s10, 2
	s_add_i32 s11, s11, -1
	s_add_u32 s4, s16, s18
	s_addc_u32 s5, s17, s19
	s_add_u32 s4, s4, 4
	s_addc_u32 s5, s5, 0
	s_mov_b32 s15, 0
	s_branch .LBB4_123
.LBB4_122:                              ;   in Loop: Header=BB4_123 Depth=1
	s_add_i32 s15, s15, 1
	s_add_u32 s4, s4, 4
	s_addc_u32 s5, s5, 0
	s_cmp_eq_u32 s11, s15
	s_cselect_b64 s[22:23], -1, 0
	s_mov_b32 s14, s11
	s_andn2_b64 vcc, exec, s[22:23]
	s_cbranch_vccz .LBB4_125
.LBB4_123:                              ; =>This Inner Loop Header: Depth=1
	global_load_dword v1, v0, s[4:5]
	s_mov_b64 s[22:23], -1
	s_waitcnt vmcnt(0)
	v_cmp_le_i32_e32 vcc, s36, v1
	s_cbranch_vccz .LBB4_122
; %bb.124:                              ;   in Loop: Header=BB4_123 Depth=1
                                        ; implicit-def: $sgpr4_sgpr5
	s_mov_b32 s14, s15
	s_andn2_b64 vcc, exec, s[22:23]
	s_cbranch_vccnz .LBB4_123
.LBB4_125:
	s_mov_b32 s15, 0
	s_branch .LBB4_127
.LBB4_126:
	s_mov_b64 s[14:15], 0
.LBB4_127:
	s_lshl_b64 s[4:5], s[14:15], 2
	s_add_u32 s4, s8, s4
	s_addc_u32 s5, s9, s5
	v_mov_b32_e32 v0, 0
	global_load_dword v2, v0, s[4:5]
	s_and_b64 vcc, exec, s[2:3]
	s_mov_b32 s5, 1
	s_cbranch_vccnz .LBB4_133
; %bb.128:
	s_max_i32 s14, s10, 2
	s_add_i32 s15, s14, -1
	s_add_u32 s2, s16, s18
	s_addc_u32 s3, s17, s19
	s_add_u32 s2, s2, 4
	s_addc_u32 s3, s3, 0
	s_branch .LBB4_130
.LBB4_129:                              ;   in Loop: Header=BB4_130 Depth=1
	s_mov_b32 s4, s5
                                        ; implicit-def: $sgpr2_sgpr3
	s_andn2_b64 vcc, exec, s[10:11]
	s_cbranch_vccz .LBB4_132
.LBB4_130:                              ; =>This Inner Loop Header: Depth=1
	global_load_dword v1, v0, s[2:3]
	s_mov_b64 s[10:11], -1
	s_waitcnt vmcnt(0)
	v_cmp_gt_i32_e32 vcc, s37, v1
	s_cbranch_vccz .LBB4_129
; %bb.131:                              ;   in Loop: Header=BB4_130 Depth=1
	s_add_i32 s5, s5, 1
	s_add_u32 s2, s2, 4
	s_addc_u32 s3, s3, 0
	s_cmp_eq_u32 s14, s5
	s_cselect_b64 s[10:11], -1, 0
	s_mov_b32 s4, s15
	s_andn2_b64 vcc, exec, s[10:11]
	s_cbranch_vccnz .LBB4_130
.LBB4_132:
	s_ashr_i32 s5, s4, 31
	s_branch .LBB4_134
.LBB4_133:
	s_mov_b64 s[4:5], 0
.LBB4_134:
	s_lshl_b64 s[2:3], s[4:5], 2
	s_add_u32 s2, s8, s2
	s_addc_u32 s3, s9, s3
	v_mov_b32_e32 v0, 0
	global_load_dword v3, v0, s[2:3]
.LBB4_135:
	s_or_b64 exec, exec, s[6:7]
	s_and_saveexec_b64 s[2:3], s[0:1]
	s_cbranch_execz .LBB4_84
.LBB4_136:
	s_lshl_b64 s[0:1], s[34:35], 2
	s_add_u32 s0, s20, s0
	s_addc_u32 s1, s21, s1
	s_lshl_b32 s2, s34, 1
	s_ashr_i32 s3, s2, 31
	s_lshl_b64 s[2:3], s[2:3], 2
	s_add_u32 s2, s12, s2
	s_addc_u32 s3, s13, s3
	s_cmpk_eq_i32 s24, 0xe7
	v_mov_b32_e32 v4, 0
	s_cselect_b64 s[4:5], -1, 0
	s_waitcnt vmcnt(0)
	v_cndmask_b32_e64 v1, v3, 0, s[4:5]
	v_cndmask_b32_e64 v0, v2, 0, s[4:5]
	global_store_dword v4, v6, s[0:1]
	global_store_dwordx2 v4, v[0:1], s[2:3]
	s_endpgm
	.section	.rodata,"a",@progbits
	.p2align	6, 0x0
	.amdhsa_kernel _ZN9rocsolver6v33100L22stebz_splitting_kernelIfPfEEv15rocblas_erange_iT_S4_iiT0_iiS5_iiPiPS4_lS6_lS6_S7_S7_S7_S7_S6_S4_S4_
		.amdhsa_group_segment_fixed_size 2048
		.amdhsa_private_segment_fixed_size 0
		.amdhsa_kernarg_size 152
		.amdhsa_user_sgpr_count 6
		.amdhsa_user_sgpr_private_segment_buffer 1
		.amdhsa_user_sgpr_dispatch_ptr 0
		.amdhsa_user_sgpr_queue_ptr 0
		.amdhsa_user_sgpr_kernarg_segment_ptr 1
		.amdhsa_user_sgpr_dispatch_id 0
		.amdhsa_user_sgpr_flat_scratch_init 0
		.amdhsa_user_sgpr_kernarg_preload_length 0
		.amdhsa_user_sgpr_kernarg_preload_offset 0
		.amdhsa_user_sgpr_private_segment_size 0
		.amdhsa_uses_dynamic_stack 0
		.amdhsa_system_sgpr_private_segment_wavefront_offset 0
		.amdhsa_system_sgpr_workgroup_id_x 1
		.amdhsa_system_sgpr_workgroup_id_y 1
		.amdhsa_system_sgpr_workgroup_id_z 0
		.amdhsa_system_sgpr_workgroup_info 0
		.amdhsa_system_vgpr_workitem_id 0
		.amdhsa_next_free_vgpr 46
		.amdhsa_next_free_sgpr 58
		.amdhsa_accum_offset 48
		.amdhsa_reserve_vcc 1
		.amdhsa_reserve_flat_scratch 0
		.amdhsa_float_round_mode_32 0
		.amdhsa_float_round_mode_16_64 0
		.amdhsa_float_denorm_mode_32 3
		.amdhsa_float_denorm_mode_16_64 3
		.amdhsa_dx10_clamp 1
		.amdhsa_ieee_mode 1
		.amdhsa_fp16_overflow 0
		.amdhsa_tg_split 0
		.amdhsa_exception_fp_ieee_invalid_op 0
		.amdhsa_exception_fp_denorm_src 0
		.amdhsa_exception_fp_ieee_div_zero 0
		.amdhsa_exception_fp_ieee_overflow 0
		.amdhsa_exception_fp_ieee_underflow 0
		.amdhsa_exception_fp_ieee_inexact 0
		.amdhsa_exception_int_div_zero 0
	.end_amdhsa_kernel
	.section	.text._ZN9rocsolver6v33100L22stebz_splitting_kernelIfPfEEv15rocblas_erange_iT_S4_iiT0_iiS5_iiPiPS4_lS6_lS6_S7_S7_S7_S7_S6_S4_S4_,"axG",@progbits,_ZN9rocsolver6v33100L22stebz_splitting_kernelIfPfEEv15rocblas_erange_iT_S4_iiT0_iiS5_iiPiPS4_lS6_lS6_S7_S7_S7_S7_S6_S4_S4_,comdat
.Lfunc_end4:
	.size	_ZN9rocsolver6v33100L22stebz_splitting_kernelIfPfEEv15rocblas_erange_iT_S4_iiT0_iiS5_iiPiPS4_lS6_lS6_S7_S7_S7_S7_S6_S4_S4_, .Lfunc_end4-_ZN9rocsolver6v33100L22stebz_splitting_kernelIfPfEEv15rocblas_erange_iT_S4_iiT0_iiS5_iiPiPS4_lS6_lS6_S7_S7_S7_S7_S6_S4_S4_
                                        ; -- End function
	.section	.AMDGPU.csdata,"",@progbits
; Kernel info:
; codeLenInByte = 6212
; NumSgprs: 62
; NumVgprs: 46
; NumAgprs: 0
; TotalNumVgprs: 46
; ScratchSize: 0
; MemoryBound: 0
; FloatMode: 240
; IeeeMode: 1
; LDSByteSize: 2048 bytes/workgroup (compile time only)
; SGPRBlocks: 7
; VGPRBlocks: 5
; NumSGPRsForWavesPerEU: 62
; NumVGPRsForWavesPerEU: 46
; AccumOffset: 48
; Occupancy: 8
; WaveLimiterHint : 1
; COMPUTE_PGM_RSRC2:SCRATCH_EN: 0
; COMPUTE_PGM_RSRC2:USER_SGPR: 6
; COMPUTE_PGM_RSRC2:TRAP_HANDLER: 0
; COMPUTE_PGM_RSRC2:TGID_X_EN: 1
; COMPUTE_PGM_RSRC2:TGID_Y_EN: 1
; COMPUTE_PGM_RSRC2:TGID_Z_EN: 0
; COMPUTE_PGM_RSRC2:TIDIG_COMP_CNT: 0
; COMPUTE_PGM_RSRC3_GFX90A:ACCUM_OFFSET: 11
; COMPUTE_PGM_RSRC3_GFX90A:TG_SPLIT: 0
	.section	.text._ZN9rocsolver6v33100L22stebz_bisection_kernelIfPfEEv15rocblas_erange_iT_T0_iiS5_iiPiPS4_lS6_lS6_lS6_S6_S7_S7_S7_S7_S6_S4_S4_,"axG",@progbits,_ZN9rocsolver6v33100L22stebz_bisection_kernelIfPfEEv15rocblas_erange_iT_T0_iiS5_iiPiPS4_lS6_lS6_lS6_S6_S7_S7_S7_S7_S6_S4_S4_,comdat
	.globl	_ZN9rocsolver6v33100L22stebz_bisection_kernelIfPfEEv15rocblas_erange_iT_T0_iiS5_iiPiPS4_lS6_lS6_lS6_S6_S7_S7_S7_S7_S6_S4_S4_ ; -- Begin function _ZN9rocsolver6v33100L22stebz_bisection_kernelIfPfEEv15rocblas_erange_iT_T0_iiS5_iiPiPS4_lS6_lS6_lS6_S6_S7_S7_S7_S7_S6_S4_S4_
	.p2align	8
	.type	_ZN9rocsolver6v33100L22stebz_bisection_kernelIfPfEEv15rocblas_erange_iT_T0_iiS5_iiPiPS4_lS6_lS6_lS6_S6_S7_S7_S7_S7_S6_S4_S4_,@function
_ZN9rocsolver6v33100L22stebz_bisection_kernelIfPfEEv15rocblas_erange_iT_T0_iiS5_iiPiPS4_lS6_lS6_lS6_S6_S7_S7_S7_S7_S6_S4_S4_: ; @_ZN9rocsolver6v33100L22stebz_bisection_kernelIfPfEEv15rocblas_erange_iT_T0_iiS5_iiPiPS4_lS6_lS6_lS6_S6_S7_S7_S7_S7_S6_S4_S4_
; %bb.0:
	s_load_dwordx16 s[8:23], s[4:5], 0x30
	s_mov_b32 s34, s7
	s_ashr_i32 s35, s7, 31
	s_lshl_b64 s[54:55], s[34:35], 2
	s_waitcnt lgkmcnt(0)
	s_add_u32 s0, s8, s54
	s_addc_u32 s1, s9, s55
	s_load_dword s33, s[0:1], 0x0
	s_waitcnt lgkmcnt(0)
	s_cmp_ge_i32 s6, s33
	s_cbranch_scc1 .LBB5_108
; %bb.1:
	s_load_dwordx8 s[24:31], s[4:5], 0x0
	s_load_dwordx4 s[44:47], s[4:5], 0x20
	s_load_dwordx8 s[36:43], s[4:5], 0x70
	s_load_dwordx4 s[0:3], s[4:5], 0x90
	s_waitcnt lgkmcnt(0)
	s_load_dword s27, s[4:5], 0xa0
	s_mul_hi_i32 s9, s31, s34
	s_mul_i32 s8, s31, s34
                                        ; kill: killed $sgpr4_sgpr5
	s_ashr_i32 s5, s30, 31
	s_lshl_b64 s[48:49], s[8:9], 2
	s_mov_b32 s4, s30
	s_add_u32 s7, s28, s48
	s_addc_u32 s8, s29, s49
	s_lshl_b64 s[50:51], s[4:5], 2
	s_add_u32 s62, s7, s50
	s_addc_u32 s63, s8, s51
	s_mul_hi_i32 s9, s47, s34
	s_mul_i32 s8, s47, s34
	s_ashr_i32 s5, s46, 31
	s_mov_b32 s4, s46
	s_lshl_b64 s[46:47], s[8:9], 2
	s_add_u32 s7, s44, s46
	s_addc_u32 s8, s45, s47
	s_lshl_b64 s[52:53], s[4:5], 2
	s_add_u32 s64, s7, s52
	s_mul_i32 s4, s34, s13
	s_mul_hi_u32 s5, s34, s12
	s_addc_u32 s65, s8, s53
	s_add_i32 s4, s5, s4
	s_mul_i32 s5, s35, s12
	s_add_i32 s5, s4, s5
	s_mul_i32 s4, s34, s12
	s_lshl_b64 s[4:5], s[4:5], 2
	s_add_u32 s66, s10, s4
	s_addc_u32 s67, s11, s5
	s_mul_i32 s4, s34, s17
	s_mul_hi_u32 s5, s34, s16
	s_add_i32 s4, s5, s4
	s_mul_i32 s5, s35, s16
	s_add_i32 s5, s4, s5
	s_mul_i32 s4, s34, s16
	s_lshl_b64 s[4:5], s[4:5], 2
	s_add_u32 s68, s14, s4
	s_addc_u32 s69, s15, s5
	s_mul_i32 s4, s34, s21
	s_mul_hi_u32 s5, s34, s20
	s_add_i32 s4, s5, s4
	s_mul_i32 s5, s35, s20
	s_add_i32 s5, s4, s5
	s_mul_i32 s4, s34, s20
	s_lshl_b64 s[4:5], s[4:5], 2
	s_add_u32 s70, s18, s4
	s_addc_u32 s71, s19, s5
	s_add_i32 s4, s25, -1
	s_mul_i32 s4, s4, s34
	s_ashr_i32 s5, s4, 31
	s_lshl_b64 s[4:5], s[4:5], 2
	s_add_u32 s72, s40, s4
	s_addc_u32 s73, s41, s5
	s_lshl_b32 s4, s34, 1
	s_ashr_i32 s5, s4, 31
	s_lshl_b64 s[4:5], s[4:5], 2
	s_add_u32 s20, s42, s4
	s_addc_u32 s21, s43, s5
	s_add_u32 s4, s38, s54
	s_addc_u32 s5, s39, s55
	s_load_dword s30, s[4:5], 0x0
	s_add_u32 s22, s22, s54
	s_mul_i32 s4, s34, s25
	s_addc_u32 s23, s23, s55
	s_lshl_b32 s8, s4, 2
	s_ashr_i32 s9, s8, 31
	s_lshl_b64 s[8:9], s[8:9], 2
	s_add_u32 s74, s0, s8
	s_addc_u32 s75, s1, s9
	s_add_u32 s76, s2, s8
	s_addc_u32 s77, s3, s9
	s_ashr_i32 s5, s4, 31
	s_lshl_b64 s[0:1], s[4:5], 2
	s_add_u32 s78, s36, s0
	s_addc_u32 s79, s37, s1
	s_cmpk_lg_i32 s24, 0xe7
	v_mov_b32_e32 v2, 0x800000
	s_cselect_b64 s[34:35], -1, 0
	s_add_u32 s82, s70, -4
	v_mov_b32_e32 v1, 0x4f800000
	s_waitcnt lgkmcnt(0)
	v_cmp_lt_f32_e32 vcc, s30, v2
	s_addc_u32 s83, s71, -1
	v_cndmask_b32_e32 v2, 1.0, v1, vcc
	s_add_u32 s7, s48, s50
	v_mul_f32_e32 v2, s30, v2
	s_addc_u32 s12, s49, s51
	v_log_f32_e32 v2, v2
	s_add_u32 s7, s7, s28
	s_addc_u32 s12, s12, s29
	s_add_u32 s84, s7, 4
	s_addc_u32 s85, s12, 0
	s_mov_b32 s80, 0x3f317217
	v_mul_f32_e32 v3, 0x3f317217, v2
	s_add_u32 s7, s46, s52
	v_fma_f32 v4, v2, s80, -v3
	s_addc_u32 s12, s47, s53
	v_fmac_f32_e32 v4, 0x3377d1cf, v2
	s_mov_b32 s81, 0x7f800000
	s_add_u32 s7, s7, s44
	v_add_f32_e32 v3, v3, v4
	v_cmp_lt_f32_e64 s[8:9], |v2|, s81
	v_mov_b32_e32 v12, 0x41b17218
	s_addc_u32 s12, s12, s45
	v_cndmask_b32_e64 v2, v2, v3, s[8:9]
	v_cndmask_b32_e32 v3, 0, v12, vcc
	v_mov_b32_e32 v14, 0x1000
	v_lshlrev_b32_e32 v16, 4, v0
	v_and_b32_e32 v19, 0x7c, v0
	s_add_u32 s86, s7, 4
	s_mov_b32 s28, 0xfefa39ef
	v_cmp_lt_f32_e64 s[0:1], s26, 0
	v_cmp_eq_u32_e64 s[2:3], 0, v0
	v_cmp_ne_u32_e64 s[4:5], 0, v0
	s_mov_b32 s24, 0x800000
	v_sub_f32_e32 v13, v2, v3
	v_lshl_or_b32 v15, v0, 2, v14
	v_or_b32_e32 v17, 0x800, v16
	v_add_f32_e64 v18, s27, s27
	s_mov_b32 s31, s30
	v_cmp_lt_u32_e64 s[8:9], 3, v0
	v_cmp_ne_u32_e64 s[10:11], v0, v19
	s_addc_u32 s87, s12, 0
	v_mov_b32_e32 v20, 0
	s_mov_b32 s29, 0x3fe62e42
	v_mov_b32_e32 v21, 1
                                        ; implicit-def: $vgpr22
                                        ; implicit-def: $vgpr23
                                        ; implicit-def: $vgpr24
                                        ; implicit-def: $vgpr25
                                        ; implicit-def: $vgpr26
	s_branch .LBB5_4
.LBB5_2:                                ;   in Loop: Header=BB5_4 Depth=1
	s_or_b64 exec, exec, s[12:13]
	v_mov_b32_e32 v5, v26
	v_mov_b32_e32 v29, v25
	;; [unrolled: 1-line block ×5, first 2 shown]
.LBB5_3:                                ;   in Loop: Header=BB5_4 Depth=1
	s_add_i32 s6, s6, 64
	s_cmp_lt_i32 s6, s33
	v_mov_b32_e32 v22, v28
	v_mov_b32_e32 v23, v30
	;; [unrolled: 1-line block ×5, first 2 shown]
	s_barrier
	s_cbranch_scc0 .LBB5_108
.LBB5_4:                                ; =>This Loop Header: Depth=1
                                        ;     Child Loop BB5_9 Depth 2
                                        ;     Child Loop BB5_22 Depth 2
	;; [unrolled: 1-line block ×4, first 2 shown]
                                        ;       Child Loop BB5_42 Depth 3
                                        ;         Child Loop BB5_45 Depth 4
                                        ;         Child Loop BB5_59 Depth 4
	;; [unrolled: 1-line block ×3, first 2 shown]
                                        ;     Child Loop BB5_85 Depth 2
                                        ;       Child Loop BB5_88 Depth 3
                                        ;       Child Loop BB5_92 Depth 3
	s_ashr_i32 s7, s6, 31
	s_cmp_eq_u32 s6, 0
	s_mov_b32 s38, 0
	s_cbranch_scc1 .LBB5_6
; %bb.5:                                ;   in Loop: Header=BB5_4 Depth=1
	s_lshl_b64 s[12:13], s[6:7], 2
	s_add_u32 s12, s82, s12
	s_addc_u32 s13, s83, s13
	global_load_dword v2, v20, s[12:13]
	s_waitcnt vmcnt(0)
	v_readfirstlane_b32 s38, v2
.LBB5_6:                                ;   in Loop: Header=BB5_4 Depth=1
	s_lshl_b64 s[36:37], s[6:7], 2
	s_add_u32 s12, s70, s36
	s_addc_u32 s13, s71, s37
	global_load_dword v2, v20, s[12:13]
	s_waitcnt vmcnt(0)
	v_readfirstlane_b32 s7, v2
	s_sub_i32 s50, s7, s38
	s_cmp_lg_u32 s50, 1
	s_cbranch_scc0 .LBB5_16
; %bb.7:                                ;   in Loop: Header=BB5_4 Depth=1
	s_ashr_i32 s39, s38, 31
	s_lshl_b64 s[14:15], s[38:39], 2
	s_add_u32 s16, s62, s14
	s_addc_u32 s17, s63, s15
	s_add_u32 s12, s64, s14
	s_addc_u32 s13, s65, s15
	global_load_dword v2, v20, s[12:13]
	global_load_dword v7, v20, s[16:17]
	s_cmp_lt_i32 s50, 3
	s_waitcnt vmcnt(1)
	v_and_b32_e32 v4, 0x7fffffff, v2
	s_waitcnt vmcnt(0)
	v_sub_f32_e64 v3, v7, |v2|
	v_add_f32_e64 v2, v7, |v2|
	s_cbranch_scc1 .LBB5_10
; %bb.8:                                ;   in Loop: Header=BB5_4 Depth=1
	s_add_i32 s7, s50, -2
	s_add_u32 s12, s84, s14
	s_addc_u32 s13, s85, s15
	s_add_u32 s18, s86, s14
	s_addc_u32 s19, s87, s15
.LBB5_9:                                ;   Parent Loop BB5_4 Depth=1
                                        ; =>  This Inner Loop Header: Depth=2
	global_load_dword v5, v20, s[12:13]
	global_load_dword v6, v20, s[18:19]
	v_mov_b32_e32 v8, v4
	s_add_i32 s7, s7, -1
	s_add_u32 s12, s12, 4
	s_addc_u32 s13, s13, 0
	s_add_u32 s18, s18, 4
	s_addc_u32 s19, s19, 0
	s_cmp_lg_u32 s7, 0
	s_waitcnt vmcnt(1)
	v_sub_f32_e32 v9, v5, v8
	v_add_f32_e32 v5, v8, v5
	s_waitcnt vmcnt(0)
	v_sub_f32_e64 v8, v9, |v6|
	v_add_f32_e64 v5, v5, |v6|
	v_cmp_lt_f32_e32 vcc, v8, v3
	v_cndmask_b32_e32 v3, v3, v8, vcc
	v_cmp_lt_f32_e32 vcc, v2, v5
	v_and_b32_e32 v4, 0x7fffffff, v6
	v_cndmask_b32_e32 v2, v2, v5, vcc
	s_cbranch_scc1 .LBB5_9
.LBB5_10:                               ;   in Loop: Header=BB5_4 Depth=1
	s_add_i32 s18, s50, -1
	s_ashr_i32 s19, s18, 31
	s_lshl_b64 s[12:13], s[18:19], 2
	s_add_u32 s12, s16, s12
	s_addc_u32 s13, s17, s13
	global_load_dword v5, v20, s[12:13]
	v_cvt_f32_i32_e32 v8, s50
	s_waitcnt vmcnt(0)
	v_sub_f32_e32 v6, v5, v4
	v_add_f32_e32 v4, v4, v5
	v_cmp_lt_f32_e32 vcc, v6, v3
	v_cndmask_b32_e32 v3, v3, v6, vcc
	v_cmp_lt_f32_e32 vcc, v2, v4
	v_cndmask_b32_e32 v5, v2, v4, vcc
	v_cmp_lt_f32_e64 vcc, |v3|, |v5|
	v_cndmask_b32_e32 v2, v3, v5, vcc
	v_mul_f32_e64 v6, |v2|, s27
	v_fma_f32 v4, -v6, v8, v3
	v_fmac_f32_e32 v5, v6, v8
	v_pk_add_f32 v[2:3], v[4:5], s[30:31] neg_lo:[0,1] neg_hi:[0,1]
	v_pk_add_f32 v[4:5], v[4:5], s[30:31]
	s_andn2_b64 vcc, exec, s[34:35]
	v_mov_b32_e32 v3, v5
	s_cbranch_vccnz .LBB5_12
; %bb.11:                               ;   in Loop: Header=BB5_4 Depth=1
	global_load_dwordx2 v[8:9], v20, s[20:21]
	v_mov_b32_e32 v3, v5
	s_waitcnt vmcnt(0)
	v_cmp_lt_f32_e32 vcc, v2, v8
	v_cndmask_b32_e32 v2, v2, v8, vcc
	v_cmp_lt_f32_e32 vcc, v9, v3
	v_cndmask_b32_e32 v3, v3, v9, vcc
.LBB5_12:                               ;   in Loop: Header=BB5_4 Depth=1
	v_cmp_nlt_f32_e32 vcc, v2, v3
	s_cbranch_vccz .LBB5_17
; %bb.13:                               ;   in Loop: Header=BB5_4 Depth=1
	s_and_saveexec_b64 s[12:13], s[2:3]
	s_cbranch_execz .LBB5_15
; %bb.14:                               ;   in Loop: Header=BB5_4 Depth=1
	s_add_u32 s40, s78, s36
	s_addc_u32 s41, s79, s37
	ds_write_b16 v20, v20 offset:4612
	global_store_dword v20, v20, s[40:41]
.LBB5_15:                               ;   in Loop: Header=BB5_4 Depth=1
	s_or_b64 exec, exec, s[12:13]
	s_mov_b64 s[12:13], 0
	s_branch .LBB5_18
.LBB5_16:                               ;   in Loop: Header=BB5_4 Depth=1
                                        ; implicit-def: $vgpr28
                                        ; implicit-def: $vgpr30
                                        ; implicit-def: $vgpr27
                                        ; implicit-def: $vgpr29
                                        ; implicit-def: $vgpr5
	s_cbranch_execz .LBB5_3
	s_branch .LBB5_99
.LBB5_17:                               ;   in Loop: Header=BB5_4 Depth=1
	s_mov_b64 s[12:13], -1
.LBB5_18:                               ;   in Loop: Header=BB5_4 Depth=1
	s_andn2_b64 vcc, exec, s[12:13]
	v_mov_b32_e32 v5, v26
	v_mov_b32_e32 v29, v25
	;; [unrolled: 1-line block ×4, first 2 shown]
	s_cbranch_vccnz .LBB5_32
; %bb.19:                               ;   in Loop: Header=BB5_4 Depth=1
	v_sub_f32_e32 v4, v3, v2
	v_add_f32_e32 v4, s30, v4
	v_cmp_gt_f32_e32 vcc, s24, v4
	v_cndmask_b32_e32 v5, 1.0, v1, vcc
	v_mul_f32_e32 v4, v4, v5
	v_log_f32_e32 v4, v4
	v_cndmask_b32_e32 v5, 0, v12, vcc
	v_mul_f32_e32 v8, 0x3f317217, v4
	v_fma_f32 v9, v4, s80, -v8
	v_fmac_f32_e32 v9, 0x3377d1cf, v4
	v_add_f32_e32 v8, v8, v9
	v_cmp_lt_f32_e64 vcc, |v4|, s81
	v_cndmask_b32_e32 v4, v4, v8, vcc
	v_sub_f32_e32 v4, v4, v5
	v_sub_f32_e32 v4, v4, v13
	v_cvt_f64_f32_e32 v[4:5], v4
	v_div_scale_f64 v[8:9], s[12:13], s[28:29], s[28:29], v[4:5]
	v_rcp_f64_e32 v[10:11], v[8:9]
	v_div_scale_f64 v[28:29], vcc, v[4:5], s[28:29], v[4:5]
	v_fma_f64 v[30:31], -v[8:9], v[10:11], 1.0
	v_fmac_f64_e32 v[10:11], v[10:11], v[30:31]
	v_fma_f64 v[30:31], -v[8:9], v[10:11], 1.0
	v_fmac_f64_e32 v[10:11], v[10:11], v[30:31]
	v_mul_f64 v[30:31], v[28:29], v[10:11]
	v_fma_f64 v[8:9], -v[8:9], v[30:31], v[28:29]
	v_div_fmas_f64 v[8:9], v[8:9], v[10:11], v[30:31]
	v_div_fixup_f64 v[4:5], v[8:9], s[28:29], v[4:5]
	v_cvt_i32_f64_e32 v4, v[4:5]
	v_add_u32_e32 v27, 2, v4
	v_mov_b32_e32 v28, 0
	v_mov_b32_e32 v29, 1
	;; [unrolled: 1-line block ×3, first 2 shown]
	s_and_saveexec_b64 s[40:41], s[2:3]
	s_cbranch_execz .LBB5_31
; %bb.20:                               ;   in Loop: Header=BB5_4 Depth=1
	s_add_u32 s42, s72, s14
	v_sub_f32_e32 v5, v7, v2
	s_addc_u32 s43, s73, s15
	s_cmp_gt_i32 s50, 1
	v_cmp_ge_f32_e32 vcc, s30, v5
	s_cselect_b64 s[44:45], -1, 0
	s_cmp_lt_i32 s50, 2
	v_cndmask_b32_e64 v4, 0, 1, vcc
	ds_write_b8 v20, v20 offset:4613
	s_cbranch_scc1 .LBB5_23
; %bb.21:                               ;   in Loop: Header=BB5_4 Depth=1
	v_cmp_gt_f32_e64 s[12:13], v5, -s30
	s_and_b64 s[12:13], vcc, s[12:13]
	v_mov_b32_e32 v8, s30
	s_add_u32 s46, s84, s14
	v_cndmask_b32_e64 v5, v5, -v8, s[12:13]
	s_addc_u32 s47, s85, s15
	s_mov_b64 s[48:49], s[42:43]
	s_mov_b32 s7, s18
.LBB5_22:                               ;   Parent Loop BB5_4 Depth=1
                                        ; =>  This Inner Loop Header: Depth=2
	global_load_dword v8, v20, s[46:47]
	global_load_dword v9, v20, s[48:49]
	s_add_i32 s7, s7, -1
	v_mov_b32_e32 v10, s30
	s_waitcnt vmcnt(1)
	v_sub_f32_e32 v8, v8, v2
	s_waitcnt vmcnt(0)
	v_div_scale_f32 v11, s[12:13], v5, v5, v9
	v_rcp_f32_e32 v29, v11
	v_div_scale_f32 v28, vcc, v9, v5, v9
	v_fma_f32 v30, -v11, v29, 1.0
	v_fmac_f32_e32 v29, v30, v29
	v_mul_f32_e32 v30, v28, v29
	v_fma_f32 v31, -v11, v30, v28
	v_fmac_f32_e32 v30, v31, v29
	v_fma_f32 v11, -v11, v30, v28
	v_div_fmas_f32 v11, v11, v29, v30
	v_div_fixup_f32 v5, v11, v5, v9
	v_sub_f32_e32 v5, v8, v5
	v_cmp_ge_f32_e32 vcc, s30, v5
	v_cmp_gt_f32_e64 s[52:53], v5, -s30
	v_addc_co_u32_e64 v4, s[12:13], 0, v4, vcc
	s_and_b64 s[12:13], vcc, s[52:53]
	s_add_u32 s48, s48, 4
	s_addc_u32 s49, s49, 0
	s_add_u32 s46, s46, 4
	s_addc_u32 s47, s47, 0
	s_cmp_lg_u32 s7, 0
	v_cndmask_b32_e64 v5, v5, -v10, s[12:13]
	s_cbranch_scc1 .LBB5_22
.LBB5_23:                               ;   in Loop: Header=BB5_4 Depth=1
	v_sub_f32_e32 v7, v7, v3
	v_cmp_ge_f32_e64 s[12:13], s30, v7
	s_andn2_b64 vcc, exec, s[44:45]
	v_cndmask_b32_e64 v5, 0, 1, s[12:13]
	s_cbranch_vccnz .LBB5_26
; %bb.24:                               ;   in Loop: Header=BB5_4 Depth=1
	v_cmp_gt_f32_e64 s[44:45], v7, -s30
	s_and_b64 s[12:13], s[12:13], s[44:45]
	v_mov_b32_e32 v8, s30
	s_add_u32 s44, s84, s14
	v_cndmask_b32_e64 v7, v7, -v8, s[12:13]
	s_addc_u32 s45, s85, s15
	s_mov_b32 s7, s18
.LBB5_25:                               ;   Parent Loop BB5_4 Depth=1
                                        ; =>  This Inner Loop Header: Depth=2
	global_load_dword v8, v20, s[44:45]
	global_load_dword v9, v20, s[42:43]
	s_add_i32 s7, s7, -1
	v_mov_b32_e32 v10, s30
	s_waitcnt vmcnt(1)
	v_sub_f32_e32 v8, v8, v3
	s_waitcnt vmcnt(0)
	v_div_scale_f32 v11, s[12:13], v7, v7, v9
	v_rcp_f32_e32 v29, v11
	v_div_scale_f32 v28, vcc, v9, v7, v9
	v_fma_f32 v30, -v11, v29, 1.0
	v_fmac_f32_e32 v29, v30, v29
	v_mul_f32_e32 v30, v28, v29
	v_fma_f32 v31, -v11, v30, v28
	v_fmac_f32_e32 v30, v31, v29
	v_fma_f32 v11, -v11, v30, v28
	v_div_fmas_f32 v11, v11, v29, v30
	v_div_fixup_f32 v7, v11, v7, v9
	v_sub_f32_e32 v7, v8, v7
	v_cmp_ge_f32_e32 vcc, s30, v7
	v_cmp_gt_f32_e64 s[46:47], v7, -s30
	v_addc_co_u32_e64 v5, s[12:13], 0, v5, vcc
	s_and_b64 s[12:13], vcc, s[46:47]
	s_add_u32 s42, s42, 4
	s_addc_u32 s43, s43, 0
	s_add_u32 s44, s44, 4
	s_addc_u32 s45, s45, 0
	s_cmp_lg_u32 s7, 0
	v_cndmask_b32_e64 v7, v7, -v10, s[12:13]
	s_cbranch_scc1 .LBB5_25
.LBB5_26:                               ;   in Loop: Header=BB5_4 Depth=1
	v_sub_u32_e32 v7, v5, v4
	v_cmp_gt_i32_e32 vcc, 1, v7
	s_cbranch_vccz .LBB5_28
; %bb.27:                               ;   in Loop: Header=BB5_4 Depth=1
	s_add_u32 s12, s78, s36
	s_addc_u32 s13, s79, s37
	ds_write_b8 v20, v20 offset:4612
	global_store_dword v20, v20, s[12:13]
	s_mov_b32 s7, 1
	s_mov_b32 s19, 0
	s_cbranch_execz .LBB5_29
	s_branch .LBB5_30
.LBB5_28:                               ;   in Loop: Header=BB5_4 Depth=1
                                        ; implicit-def: $sgpr19
                                        ; implicit-def: $sgpr7
.LBB5_29:                               ;   in Loop: Header=BB5_4 Depth=1
	s_add_i32 s12, s38, s25
	s_lshl_b32 s12, s12, 1
	s_ashr_i32 s13, s12, 31
	s_lshl_b64 s[12:13], s[12:13], 2
	s_add_u32 s42, s74, s12
	s_addc_u32 s43, s75, s13
	global_store_dwordx2 v20, v[2:3], s[42:43]
	s_add_u32 s42, s78, s36
	s_addc_u32 s43, s79, s37
	s_add_u32 s12, s76, s12
	s_mov_b32 s7, 1
	s_addc_u32 s13, s77, s13
	s_mov_b32 s19, 0
	ds_write_b8 v20, v21 offset:4612
	global_store_dword v20, v7, s[42:43]
	global_store_dwordx2 v20, v[4:5], s[12:13]
.LBB5_30:                               ;   in Loop: Header=BB5_4 Depth=1
	v_mov_b32_e32 v28, s19
	v_mov_b32_e32 v29, s7
.LBB5_31:                               ;   in Loop: Header=BB5_4 Depth=1
	s_or_b64 exec, exec, s[40:41]
.LBB5_32:                               ;   in Loop: Header=BB5_4 Depth=1
	s_waitcnt lgkmcnt(0)
	s_barrier
	ds_read_u8 v2, v20 offset:4612
	s_mov_b64 s[12:13], 0
	s_waitcnt lgkmcnt(0)
	v_cmp_eq_u32_e32 vcc, 0, v2
	s_cbranch_vccnz .LBB5_77
; %bb.33:                               ;   in Loop: Header=BB5_4 Depth=1
	ds_read_u8 v2, v20 offset:4613
	v_cmp_lt_i32_e32 vcc, v28, v27
	s_mov_b64 s[12:13], -1
	v_mov_b32_e32 v30, v23
	s_waitcnt lgkmcnt(0)
	v_readfirstlane_b32 s7, v2
	s_bitcmp1_b32 s7, 0
	s_cselect_b64 s[40:41], -1, 0
	s_xor_b64 s[40:41], s[40:41], -1
	s_and_b64 s[42:43], s[40:41], vcc
	s_and_saveexec_b64 s[40:41], s[42:43]
	s_cbranch_execz .LBB5_79
; %bb.34:                               ;   in Loop: Header=BB5_4 Depth=1
	s_add_i32 s7, s38, s25
	s_lshl_b32 s7, s7, 1
	s_cmp_gt_i32 s50, 1
	s_cselect_b64 s[42:43], -1, 0
	s_lshl_b32 s19, s38, 1
	v_mov_b32_e32 v2, s26
	s_add_u32 s44, s72, s14
	v_cndmask_b32_e64 v2, v2, v6, s[0:1]
	s_addc_u32 s45, s73, s15
	v_mov_b32_e32 v3, s30
	v_cmp_gt_f32_e32 vcc, s30, v2
	s_add_u32 s46, s84, s14
	v_cndmask_b32_e32 v31, v2, v3, vcc
	s_addc_u32 s47, s85, s15
	s_mov_b64 s[48:49], 0
                                        ; implicit-def: $sgpr50_sgpr51
	s_branch .LBB5_37
.LBB5_35:                               ;   in Loop: Header=BB5_37 Depth=2
	s_mov_b64 s[14:15], -1
	s_mov_b64 s[12:13], 0
.LBB5_36:                               ;   in Loop: Header=BB5_37 Depth=2
	s_and_b64 s[14:15], exec, s[14:15]
	s_or_b64 s[48:49], s[14:15], s[48:49]
	s_andn2_b64 s[14:15], s[50:51], exec
	s_and_b64 s[12:13], s[12:13], exec
	s_or_b64 s[50:51], s[14:15], s[12:13]
	s_andn2_b64 exec, exec, s[48:49]
	s_cbranch_execz .LBB5_78
.LBB5_37:                               ;   Parent Loop BB5_4 Depth=1
                                        ; =>  This Loop Header: Depth=2
                                        ;       Child Loop BB5_42 Depth 3
                                        ;         Child Loop BB5_45 Depth 4
                                        ;         Child Loop BB5_59 Depth 4
	;; [unrolled: 1-line block ×3, first 2 shown]
	s_and_saveexec_b64 s[12:13], s[2:3]
	s_cbranch_execz .LBB5_39
; %bb.38:                               ;   in Loop: Header=BB5_37 Depth=2
	ds_write_b32 v20, v20 offset:4608
.LBB5_39:                               ;   in Loop: Header=BB5_37 Depth=2
	s_or_b64 exec, exec, s[12:13]
	v_and_b32_e32 v2, 1, v28
	v_mov_b32_e32 v3, s7
	v_mov_b32_e32 v4, s19
	v_cmp_eq_u32_e32 vcc, 0, v2
	v_cndmask_b32_e32 v30, v3, v4, vcc
	v_cmp_lt_i32_e64 s[12:13], 0, v29
	s_and_saveexec_b64 s[52:53], s[12:13]
	s_cbranch_execz .LBB5_72
; %bb.40:                               ;   in Loop: Header=BB5_37 Depth=2
	v_mov_b32_e32 v2, s19
	v_mov_b32_e32 v3, s7
	v_cndmask_b32_e32 v32, v2, v3, vcc
	s_mov_b32 s88, 0
	s_mov_b64 s[54:55], 0
	s_branch .LBB5_42
.LBB5_41:                               ;   in Loop: Header=BB5_42 Depth=3
	s_or_b64 exec, exec, s[12:13]
	s_addk_i32 s88, 0x80
	v_cmp_ge_i32_e32 vcc, s88, v29
	s_or_b64 s[54:55], vcc, s[54:55]
	s_waitcnt lgkmcnt(0)
	s_barrier
	s_andn2_b64 exec, exec, s[54:55]
	s_cbranch_execz .LBB5_71
.LBB5_42:                               ;   Parent Loop BB5_4 Depth=1
                                        ;     Parent Loop BB5_37 Depth=2
                                        ; =>    This Loop Header: Depth=3
                                        ;         Child Loop BB5_45 Depth 4
                                        ;         Child Loop BB5_59 Depth 4
	;; [unrolled: 1-line block ×3, first 2 shown]
	v_add_u32_e32 v2, s88, v0
	v_cmp_lt_i32_e64 s[12:13], v2, v29
	s_and_saveexec_b64 s[56:57], s[12:13]
	s_cbranch_execz .LBB5_55
; %bb.43:                               ;   in Loop: Header=BB5_42 Depth=3
	v_lshl_add_u32 v2, v2, 1, v32
	v_ashrrev_i32_e32 v3, 31, v2
	v_lshlrev_b64 v[4:5], 2, v[2:3]
	v_mov_b32_e32 v3, s75
	v_add_co_u32_e32 v2, vcc, s74, v4
	v_addc_co_u32_e32 v3, vcc, v3, v5, vcc
	global_load_dwordx2 v[10:11], v[2:3], off
	v_mov_b32_e32 v2, s77
	global_load_dword v3, v20, s[16:17]
	v_add_co_u32_e32 v4, vcc, s76, v4
	v_addc_co_u32_e32 v5, vcc, v2, v5, vcc
	global_load_dwordx2 v[4:5], v[4:5], off
	s_andn2_b64 vcc, exec, s[42:43]
	s_waitcnt vmcnt(2)
	v_add_f32_e32 v2, v10, v11
	v_mul_f32_e32 v8, 0.5, v2
	s_waitcnt vmcnt(1)
	v_fmac_f32_e32 v3, -0.5, v2
	v_cmp_ge_f32_e64 s[14:15], s30, v3
	v_cndmask_b32_e64 v2, 0, 1, s[14:15]
	s_cbranch_vccnz .LBB5_46
; %bb.44:                               ;   in Loop: Header=BB5_42 Depth=3
	v_cmp_gt_f32_e64 s[58:59], v3, -s30
	v_mov_b32_e32 v6, s30
	s_and_b64 s[14:15], s[14:15], s[58:59]
	v_cndmask_b32_e64 v3, v3, -v6, s[14:15]
	s_mov_b64 s[58:59], s[46:47]
	s_mov_b64 s[60:61], s[44:45]
	s_mov_b32 s89, s18
.LBB5_45:                               ;   Parent Loop BB5_4 Depth=1
                                        ;     Parent Loop BB5_37 Depth=2
                                        ;       Parent Loop BB5_42 Depth=3
                                        ; =>      This Inner Loop Header: Depth=4
	global_load_dword v6, v20, s[58:59]
	global_load_dword v7, v20, s[60:61]
	s_add_i32 s89, s89, -1
	v_mov_b32_e32 v9, s30
	s_waitcnt vmcnt(1)
	v_sub_f32_e32 v6, v6, v8
	s_waitcnt vmcnt(0)
	v_div_scale_f32 v33, s[14:15], v3, v3, v7
	v_rcp_f32_e32 v35, v33
	v_div_scale_f32 v34, vcc, v7, v3, v7
	v_fma_f32 v36, -v33, v35, 1.0
	v_fmac_f32_e32 v35, v36, v35
	v_mul_f32_e32 v36, v34, v35
	v_fma_f32 v37, -v33, v36, v34
	v_fmac_f32_e32 v36, v37, v35
	v_fma_f32 v33, -v33, v36, v34
	v_div_fmas_f32 v33, v33, v35, v36
	v_div_fixup_f32 v3, v33, v3, v7
	v_sub_f32_e32 v3, v6, v3
	v_cmp_ge_f32_e32 vcc, s30, v3
	v_cmp_gt_f32_e64 s[90:91], v3, -s30
	v_addc_co_u32_e64 v2, s[14:15], 0, v2, vcc
	s_and_b64 s[14:15], vcc, s[90:91]
	s_add_u32 s60, s60, 4
	s_addc_u32 s61, s61, 0
	s_add_u32 s58, s58, 4
	s_addc_u32 s59, s59, 0
	s_cmp_lg_u32 s89, 0
	v_cndmask_b32_e64 v3, v3, -v9, s[14:15]
	s_cbranch_scc1 .LBB5_45
.LBB5_46:                               ;   in Loop: Header=BB5_42 Depth=3
	s_waitcnt vmcnt(0)
	v_max_i32_e32 v2, v2, v4
	v_min_i32_e32 v3, v2, v5
	v_cmp_ne_u32_e32 vcc, v3, v4
	s_and_saveexec_b64 s[14:15], vcc
	s_xor_b64 s[14:15], exec, s[14:15]
	s_cbranch_execz .LBB5_52
; %bb.47:                               ;   in Loop: Header=BB5_42 Depth=3
	v_cmp_le_i32_e32 vcc, v5, v2
	s_and_saveexec_b64 s[58:59], vcc
	s_xor_b64 s[58:59], exec, s[58:59]
	s_cbranch_execz .LBB5_49
; %bb.48:                               ;   in Loop: Header=BB5_42 Depth=3
	v_mov_b32_e32 v11, v8
	v_mov_b32_e32 v2, v4
	ds_write_b32 v15, v20
	ds_write_b64 v16, v[10:11]
	ds_write_b64 v17, v[2:3]
                                        ; implicit-def: $vgpr10
                                        ; implicit-def: $vgpr8
.LBB5_49:                               ;   in Loop: Header=BB5_42 Depth=3
	s_andn2_saveexec_b64 s[58:59], s[58:59]
	s_cbranch_execz .LBB5_51
; %bb.50:                               ;   in Loop: Header=BB5_42 Depth=3
	v_mov_b32_e32 v6, v10
	v_mov_b32_e32 v7, v8
	;; [unrolled: 1-line block ×5, first 2 shown]
	ds_write_b32 v15, v21
	ds_write_b128 v16, v[6:9]
	ds_write_b128 v17, v[2:5]
.LBB5_51:                               ;   in Loop: Header=BB5_42 Depth=3
	s_or_b64 exec, exec, s[58:59]
                                        ; implicit-def: $vgpr8
                                        ; implicit-def: $vgpr10_vgpr11
.LBB5_52:                               ;   in Loop: Header=BB5_42 Depth=3
	s_andn2_saveexec_b64 s[14:15], s[14:15]
	s_cbranch_execz .LBB5_54
; %bb.53:                               ;   in Loop: Header=BB5_42 Depth=3
	v_mov_b32_e32 v9, v11
	ds_write_b32 v15, v20
	ds_write_b64 v16, v[8:9]
	ds_write_b64 v17, v[4:5]
.LBB5_54:                               ;   in Loop: Header=BB5_42 Depth=3
	s_or_b64 exec, exec, s[14:15]
.LBB5_55:                               ;   in Loop: Header=BB5_42 Depth=3
	s_or_b64 exec, exec, s[56:57]
	s_waitcnt lgkmcnt(0)
	s_barrier
	s_and_saveexec_b64 s[14:15], s[12:13]
	s_cbranch_execz .LBB5_69
; %bb.56:                               ;   in Loop: Header=BB5_42 Depth=3
	v_mov_b32_e32 v5, 0
	s_and_saveexec_b64 s[12:13], s[4:5]
	s_cbranch_execz .LBB5_66
; %bb.57:                               ;   in Loop: Header=BB5_42 Depth=3
	s_mov_b64 s[58:59], -1
	v_mov_b32_e32 v5, 0
	v_mov_b32_e32 v3, 0
	s_and_saveexec_b64 s[56:57], s[8:9]
	s_cbranch_execz .LBB5_61
; %bb.58:                               ;   in Loop: Header=BB5_42 Depth=3
	s_movk_i32 s60, 0x1000
	s_mov_b64 s[58:59], 0
	v_mov_b32_e32 v2, 0
	v_mov_b32_e32 v3, v19
	;; [unrolled: 1-line block ×5, first 2 shown]
.LBB5_59:                               ;   Parent Loop BB5_4 Depth=1
                                        ;     Parent Loop BB5_37 Depth=2
                                        ;       Parent Loop BB5_42 Depth=3
                                        ; =>      This Inner Loop Header: Depth=4
	v_mov_b32_e32 v7, s60
	ds_read_b128 v[8:11], v7
	v_add_u32_e32 v3, -4, v3
	s_add_i32 s60, s60, 16
	v_cmp_eq_u32_e32 vcc, 0, v3
	s_or_b64 s[58:59], vcc, s[58:59]
	s_waitcnt lgkmcnt(0)
	v_add_u32_e32 v4, v9, v4
	v_add_u32_e32 v2, v8, v2
	v_add_u32_e32 v6, v11, v6
	v_add_u32_e32 v5, v10, v5
	s_andn2_b64 exec, exec, s[58:59]
	s_cbranch_execnz .LBB5_59
; %bb.60:                               ;   in Loop: Header=BB5_42 Depth=3
	s_or_b64 exec, exec, s[58:59]
	v_add_u32_e32 v3, v6, v4
	v_add3_u32 v5, v5, v2, v3
	s_orn2_b64 s[58:59], s[10:11], exec
	v_mov_b32_e32 v3, v19
.LBB5_61:                               ;   in Loop: Header=BB5_42 Depth=3
	s_or_b64 exec, exec, s[56:57]
	s_and_saveexec_b64 s[56:57], s[58:59]
	s_cbranch_execz .LBB5_65
; %bb.62:                               ;   in Loop: Header=BB5_42 Depth=3
	v_sub_u32_e32 v2, v0, v3
	v_lshl_or_b32 v3, v3, 2, v14
	s_mov_b64 s[58:59], 0
.LBB5_63:                               ;   Parent Loop BB5_4 Depth=1
                                        ;     Parent Loop BB5_37 Depth=2
                                        ;       Parent Loop BB5_42 Depth=3
                                        ; =>      This Inner Loop Header: Depth=4
	ds_read_b32 v4, v3
	v_add_u32_e32 v2, -1, v2
	v_cmp_eq_u32_e32 vcc, 0, v2
	v_add_u32_e32 v3, 4, v3
	s_or_b64 s[58:59], vcc, s[58:59]
	s_waitcnt lgkmcnt(0)
	v_add_u32_e32 v5, v4, v5
	s_andn2_b64 exec, exec, s[58:59]
	s_cbranch_execnz .LBB5_63
; %bb.64:                               ;   in Loop: Header=BB5_42 Depth=3
	s_or_b64 exec, exec, s[58:59]
.LBB5_65:                               ;   in Loop: Header=BB5_42 Depth=3
	s_or_b64 exec, exec, s[56:57]
.LBB5_66:                               ;   in Loop: Header=BB5_42 Depth=3
	s_or_b64 exec, exec, s[12:13]
	ds_read_b32 v2, v20 offset:4608
	ds_read_b64 v[8:9], v17
	ds_read_b64 v[10:11], v16
	ds_read_b32 v33, v15
	v_mov_b32_e32 v4, s75
	s_waitcnt lgkmcnt(3)
	v_add3_u32 v2, v5, v0, v2
	v_lshl_add_u32 v2, v2, 1, v30
	v_ashrrev_i32_e32 v3, 31, v2
	v_lshlrev_b64 v[6:7], 2, v[2:3]
	v_add_co_u32_e32 v2, vcc, s74, v6
	v_addc_co_u32_e32 v3, vcc, v4, v7, vcc
	v_mov_b32_e32 v4, s77
	v_add_co_u32_e32 v6, vcc, s76, v6
	v_addc_co_u32_e32 v7, vcc, v4, v7, vcc
	s_waitcnt lgkmcnt(0)
	v_cmp_ne_u32_e32 vcc, 0, v33
	global_store_dwordx2 v[2:3], v[10:11], off
	global_store_dwordx2 v[6:7], v[8:9], off
	s_and_saveexec_b64 s[12:13], vcc
	s_cbranch_execz .LBB5_68
; %bb.67:                               ;   in Loop: Header=BB5_42 Depth=3
	ds_read_b64 v[8:9], v16 offset:8
	ds_read_b64 v[10:11], v17 offset:8
	s_waitcnt lgkmcnt(1)
	global_store_dwordx2 v[2:3], v[8:9], off offset:8
	s_waitcnt lgkmcnt(0)
	global_store_dwordx2 v[6:7], v[10:11], off offset:8
.LBB5_68:                               ;   in Loop: Header=BB5_42 Depth=3
	s_or_b64 exec, exec, s[12:13]
.LBB5_69:                               ;   in Loop: Header=BB5_42 Depth=3
	s_or_b64 exec, exec, s[14:15]
	v_subrev_u32_e32 v2, s88, v29
	v_min_i32_e32 v2, 0x80, v2
	v_add_u32_e32 v3, -1, v2
	v_cmp_eq_u32_e32 vcc, v3, v0
	s_barrier
	s_and_saveexec_b64 s[12:13], vcc
	s_cbranch_execz .LBB5_41
; %bb.70:                               ;   in Loop: Header=BB5_42 Depth=3
	ds_read_b32 v3, v15
	ds_read_b32 v4, v20 offset:4608
	v_add_u32_e32 v2, v5, v2
	s_waitcnt lgkmcnt(0)
	v_add3_u32 v2, v2, v3, v4
	ds_write_b32 v20, v2 offset:4608
	s_branch .LBB5_41
.LBB5_71:                               ;   in Loop: Header=BB5_37 Depth=2
	s_or_b64 exec, exec, s[54:55]
.LBB5_72:                               ;   in Loop: Header=BB5_37 Depth=2
	s_or_b64 exec, exec, s[52:53]
	ds_read_b32 v29, v20 offset:4608
	s_and_saveexec_b64 s[12:13], s[2:3]
	s_cbranch_execz .LBB5_75
; %bb.73:                               ;   in Loop: Header=BB5_37 Depth=2
	ds_read_b64 v[2:3], v20
	s_waitcnt lgkmcnt(0)
	v_cmp_lt_f32_e64 vcc, |v2|, |v3|
	v_sub_f32_e32 v4, v3, v2
	v_cndmask_b32_e32 v2, v2, v3, vcc
	v_mul_f32_e64 v2, v18, |v2|
	v_cmp_lt_f32_e32 vcc, v31, v2
	v_cndmask_b32_e32 v2, v31, v2, vcc
	v_cmp_nlt_f32_e32 vcc, v4, v2
	s_cbranch_vccnz .LBB5_75
; %bb.74:                               ;   in Loop: Header=BB5_37 Depth=2
	ds_write_b8 v20, v21 offset:4613
.LBB5_75:                               ;   in Loop: Header=BB5_37 Depth=2
	s_or_b64 exec, exec, s[12:13]
	s_waitcnt lgkmcnt(0)
	s_barrier
	ds_read_u8 v2, v20 offset:4612
	v_add_u32_e32 v28, 1, v28
	s_waitcnt lgkmcnt(0)
	v_readfirstlane_b32 s12, v2
	s_bitcmp1_b32 s12, 0
	s_cselect_b64 s[12:13], -1, 0
	s_and_b64 vcc, exec, s[12:13]
	s_cbranch_vccz .LBB5_35
; %bb.76:                               ;   in Loop: Header=BB5_37 Depth=2
	ds_read_u8 v2, v20 offset:4613
	v_cmp_ge_i32_e32 vcc, v28, v27
	s_waitcnt lgkmcnt(0)
	v_and_b32_e32 v2, 1, v2
	v_cmp_eq_u32_e64 s[12:13], 1, v2
	s_or_b64 s[14:15], s[12:13], vcc
	s_mov_b64 s[12:13], -1
	s_orn2_b64 s[14:15], s[14:15], exec
	s_branch .LBB5_36
.LBB5_77:                               ;   in Loop: Header=BB5_4 Depth=1
	v_mov_b32_e32 v30, v23
	s_and_saveexec_b64 s[14:15], s[2:3]
	s_cbranch_execnz .LBB5_80
	s_branch .LBB5_98
.LBB5_78:                               ;   in Loop: Header=BB5_4 Depth=1
	s_or_b64 exec, exec, s[48:49]
	s_orn2_b64 s[12:13], s[50:51], exec
.LBB5_79:                               ;   in Loop: Header=BB5_4 Depth=1
	s_or_b64 exec, exec, s[40:41]
	s_and_saveexec_b64 s[14:15], s[2:3]
	s_cbranch_execz .LBB5_98
.LBB5_80:                               ;   in Loop: Header=BB5_4 Depth=1
	s_and_saveexec_b64 s[40:41], s[12:13]
	s_cbranch_execz .LBB5_97
; %bb.81:                               ;   in Loop: Header=BB5_4 Depth=1
	ds_read_u8 v2, v20 offset:4613
	v_cmp_lt_i32_e32 vcc, 0, v29
	s_waitcnt lgkmcnt(0)
	v_readfirstlane_b32 s7, v2
	s_bitcmp1_b32 s7, 0
	s_cselect_b64 s[42:43], -1, 0
	s_and_saveexec_b64 s[44:45], vcc
	s_cbranch_execz .LBB5_95
; %bb.82:                               ;   in Loop: Header=BB5_4 Depth=1
	s_add_i32 s7, s6, 1
	s_not_b32 s16, s6
	s_and_b64 s[12:13], s[42:43], exec
	s_cselect_b32 s16, s7, s16
	s_mov_b32 s17, s16
	s_mov_b32 s7, 0
	s_mov_b64 s[46:47], 0
	v_mov_b32_e32 v10, 0
	s_branch .LBB5_85
.LBB5_83:                               ;   in Loop: Header=BB5_85 Depth=2
	s_or_b64 exec, exec, s[18:19]
.LBB5_84:                               ;   in Loop: Header=BB5_85 Depth=2
	s_or_b64 exec, exec, s[48:49]
	s_add_i32 s7, s7, 1
	v_cmp_eq_u32_e32 vcc, s7, v29
	s_or_b64 s[46:47], vcc, s[46:47]
	s_andn2_b64 exec, exec, s[46:47]
	s_cbranch_execz .LBB5_94
.LBB5_85:                               ;   Parent Loop BB5_4 Depth=1
                                        ; =>  This Loop Header: Depth=2
                                        ;       Child Loop BB5_88 Depth 3
                                        ;       Child Loop BB5_92 Depth 3
	v_lshl_add_u32 v2, s7, 1, v30
	v_ashrrev_i32_e32 v3, 31, v2
	v_lshlrev_b64 v[2:3], 2, v[2:3]
	v_mov_b32_e32 v5, s77
	v_add_co_u32_e32 v4, vcc, s76, v2
	v_addc_co_u32_e32 v5, vcc, v5, v3, vcc
	global_load_dwordx2 v[4:5], v[4:5], off
	s_waitcnt vmcnt(0)
	v_sub_u32_e32 v4, v5, v4
	v_cmp_lt_i32_e32 vcc, 0, v4
	s_and_saveexec_b64 s[48:49], vcc
	s_cbranch_execz .LBB5_84
; %bb.86:                               ;   in Loop: Header=BB5_85 Depth=2
	v_mov_b32_e32 v6, s75
	v_add_co_u32_e32 v2, vcc, s74, v2
	v_addc_co_u32_e32 v3, vcc, v6, v3, vcc
	global_load_dwordx2 v[2:3], v[2:3], off
	v_cmp_lt_u32_e32 vcc, 15, v4
	s_mov_b64 s[50:51], -1
	v_mov_b32_e32 v11, 0
	s_waitcnt vmcnt(0)
	v_add_f32_e32 v2, v2, v3
	v_mul_f32_e32 v6, 0.5, v2
	s_and_saveexec_b64 s[12:13], vcc
	s_cbranch_execz .LBB5_90
; %bb.87:                               ;   in Loop: Header=BB5_85 Depth=2
	v_and_b32_e32 v11, 0x7ffffff0, v4
	v_mov_b32_e32 v7, v6
	v_add_u32_e32 v2, s38, v10
	s_mov_b64 s[50:51], 0
	v_mov_b32_e32 v31, v11
.LBB5_88:                               ;   Parent Loop BB5_4 Depth=1
                                        ;     Parent Loop BB5_85 Depth=2
                                        ; =>    This Inner Loop Header: Depth=3
	v_ashrrev_i32_e32 v3, 31, v2
	v_lshlrev_b64 v[32:33], 2, v[2:3]
	v_mov_b32_e32 v3, s67
	v_add_co_u32_e32 v34, vcc, s66, v32
	v_addc_co_u32_e32 v35, vcc, v3, v33, vcc
	v_mov_b32_e32 v8, v6
	v_mov_b32_e32 v9, v7
	global_store_dwordx4 v[34:35], v[6:9], off
	global_store_dwordx4 v[34:35], v[6:9], off offset:16
	global_store_dwordx4 v[34:35], v[6:9], off offset:32
	;; [unrolled: 1-line block ×3, first 2 shown]
	v_mov_b32_e32 v3, s69
	v_add_co_u32_e32 v8, vcc, s68, v32
	v_addc_co_u32_e32 v9, vcc, v3, v33, vcc
	s_mov_b32 s18, s16
	s_mov_b32 s19, s17
	v_add_u32_e32 v31, -16, v31
	v_pk_mov_b32 v[34:35], s[18:19], s[18:19] op_sel:[0,1]
	v_cmp_eq_u32_e32 vcc, 0, v31
	v_pk_mov_b32 v[32:33], s[16:17], s[16:17] op_sel:[0,1]
	s_or_b64 s[50:51], vcc, s[50:51]
	v_add_u32_e32 v2, 16, v2
	global_store_dwordx4 v[8:9], v[32:35], off
	global_store_dwordx4 v[8:9], v[32:35], off offset:16
	global_store_dwordx4 v[8:9], v[32:35], off offset:32
	;; [unrolled: 1-line block ×3, first 2 shown]
	s_andn2_b64 exec, exec, s[50:51]
	s_cbranch_execnz .LBB5_88
; %bb.89:                               ;   in Loop: Header=BB5_85 Depth=2
	s_or_b64 exec, exec, s[50:51]
	v_cmp_ne_u32_e32 vcc, v4, v11
	v_add_u32_e32 v10, v10, v11
	s_orn2_b64 s[50:51], vcc, exec
.LBB5_90:                               ;   in Loop: Header=BB5_85 Depth=2
	s_or_b64 exec, exec, s[12:13]
	s_and_saveexec_b64 s[18:19], s[50:51]
	s_cbranch_execz .LBB5_83
; %bb.91:                               ;   in Loop: Header=BB5_85 Depth=2
	v_ashrrev_i32_e32 v3, 31, v10
	v_mov_b32_e32 v7, s39
	v_add_co_u32_e32 v2, vcc, s38, v10
	v_addc_co_u32_e32 v3, vcc, v7, v3, vcc
	v_lshlrev_b64 v[8:9], 2, v[2:3]
	v_mov_b32_e32 v3, s67
	v_add_co_u32_e32 v2, vcc, s66, v8
	v_addc_co_u32_e32 v3, vcc, v3, v9, vcc
	v_mov_b32_e32 v7, s69
	v_add_co_u32_e32 v8, vcc, s68, v8
	v_addc_co_u32_e32 v9, vcc, v7, v9, vcc
	s_mov_b64 s[50:51], 0
.LBB5_92:                               ;   Parent Loop BB5_4 Depth=1
                                        ;     Parent Loop BB5_85 Depth=2
                                        ; =>    This Inner Loop Header: Depth=3
	global_store_dword v[2:3], v6, off
	v_add_co_u32_e32 v2, vcc, 4, v2
	v_mov_b32_e32 v7, s16
	v_add_u32_e32 v11, 1, v11
	v_addc_co_u32_e32 v3, vcc, 0, v3, vcc
	global_store_dword v[8:9], v7, off
	v_cmp_ge_i32_e32 vcc, v11, v4
	v_add_co_u32_e64 v8, s[12:13], 4, v8
	v_add_u32_e32 v10, 1, v10
	s_or_b64 s[50:51], vcc, s[50:51]
	v_addc_co_u32_e64 v9, vcc, 0, v9, s[12:13]
	s_andn2_b64 exec, exec, s[50:51]
	s_cbranch_execnz .LBB5_92
; %bb.93:                               ;   in Loop: Header=BB5_85 Depth=2
	s_or_b64 exec, exec, s[50:51]
	s_branch .LBB5_83
.LBB5_94:                               ;   in Loop: Header=BB5_4 Depth=1
	s_or_b64 exec, exec, s[46:47]
.LBB5_95:                               ;   in Loop: Header=BB5_4 Depth=1
	s_or_b64 exec, exec, s[44:45]
	s_xor_b64 s[12:13], s[42:43], -1
	s_and_b64 vcc, exec, s[12:13]
	s_cbranch_vccz .LBB5_97
; %bb.96:                               ;   in Loop: Header=BB5_4 Depth=1
	global_store_dword v20, v21, s[22:23]
.LBB5_97:                               ;   in Loop: Header=BB5_4 Depth=1
	s_or_b64 exec, exec, s[40:41]
.LBB5_98:                               ;   in Loop: Header=BB5_4 Depth=1
	s_or_b64 exec, exec, s[14:15]
	s_branch .LBB5_3
.LBB5_99:                               ;   in Loop: Header=BB5_4 Depth=1
	s_and_saveexec_b64 s[12:13], s[2:3]
	s_cbranch_execz .LBB5_2
; %bb.100:                              ;   in Loop: Header=BB5_4 Depth=1
	s_ashr_i32 s39, s38, 31
	s_lshl_b64 s[14:15], s[38:39], 2
	s_add_u32 s16, s62, s14
	s_addc_u32 s17, s63, s15
	global_load_dword v2, v20, s[16:17]
	s_andn2_b64 vcc, exec, s[34:35]
	s_cbranch_vccnz .LBB5_104
; %bb.101:                              ;   in Loop: Header=BB5_4 Depth=1
	global_load_dword v4, v20, s[20:21]
	s_waitcnt vmcnt(1)
	v_subrev_f32_e32 v3, s30, v2
	s_mov_b64 s[16:17], 0
	s_waitcnt vmcnt(0)
	v_cmp_lt_f32_e32 vcc, v4, v3
	v_cmp_nlt_f32_e64 s[18:19], v4, v3
	s_cbranch_vccnz .LBB5_105
; %bb.102:                              ;   in Loop: Header=BB5_4 Depth=1
	s_andn2_b64 vcc, exec, s[18:19]
	s_cbranch_vccz .LBB5_106
.LBB5_103:                              ;   in Loop: Header=BB5_4 Depth=1
	s_and_b64 vcc, exec, s[16:17]
	s_cbranch_vccz .LBB5_2
	s_branch .LBB5_107
.LBB5_104:                              ;   in Loop: Header=BB5_4 Depth=1
	s_cbranch_execz .LBB5_2
	s_branch .LBB5_107
.LBB5_105:                              ;   in Loop: Header=BB5_4 Depth=1
	global_load_dword v4, v20, s[20:21] offset:4
	s_mov_b64 s[16:17], -1
	s_waitcnt vmcnt(0)
	v_cmp_nge_f32_e64 s[18:19], v4, v3
	s_andn2_b64 vcc, exec, s[18:19]
	s_cbranch_vccnz .LBB5_103
.LBB5_106:                              ;   in Loop: Header=BB5_4 Depth=1
	s_add_u32 s16, s78, s36
	s_addc_u32 s17, s79, s37
	global_store_dword v20, v20, s[16:17]
	s_branch .LBB5_2
.LBB5_107:                              ;   in Loop: Header=BB5_4 Depth=1
	s_add_u32 s16, s66, s14
	s_addc_u32 s17, s67, s15
	s_waitcnt vmcnt(0)
	global_store_dword v20, v2, s[16:17]
	s_add_u32 s16, s78, s36
	s_addc_u32 s17, s79, s37
	s_add_i32 s7, s6, 1
	s_add_u32 s14, s68, s14
	s_addc_u32 s15, s69, s15
	v_mov_b32_e32 v2, s7
	global_store_dword v20, v21, s[16:17]
	global_store_dword v20, v2, s[14:15]
	s_branch .LBB5_2
.LBB5_108:
	s_endpgm
	.section	.rodata,"a",@progbits
	.p2align	6, 0x0
	.amdhsa_kernel _ZN9rocsolver6v33100L22stebz_bisection_kernelIfPfEEv15rocblas_erange_iT_T0_iiS5_iiPiPS4_lS6_lS6_lS6_S6_S7_S7_S7_S7_S6_S4_S4_
		.amdhsa_group_segment_fixed_size 4616
		.amdhsa_private_segment_fixed_size 0
		.amdhsa_kernarg_size 168
		.amdhsa_user_sgpr_count 6
		.amdhsa_user_sgpr_private_segment_buffer 1
		.amdhsa_user_sgpr_dispatch_ptr 0
		.amdhsa_user_sgpr_queue_ptr 0
		.amdhsa_user_sgpr_kernarg_segment_ptr 1
		.amdhsa_user_sgpr_dispatch_id 0
		.amdhsa_user_sgpr_flat_scratch_init 0
		.amdhsa_user_sgpr_kernarg_preload_length 0
		.amdhsa_user_sgpr_kernarg_preload_offset 0
		.amdhsa_user_sgpr_private_segment_size 0
		.amdhsa_uses_dynamic_stack 0
		.amdhsa_system_sgpr_private_segment_wavefront_offset 0
		.amdhsa_system_sgpr_workgroup_id_x 1
		.amdhsa_system_sgpr_workgroup_id_y 1
		.amdhsa_system_sgpr_workgroup_id_z 0
		.amdhsa_system_sgpr_workgroup_info 0
		.amdhsa_system_vgpr_workitem_id 0
		.amdhsa_next_free_vgpr 38
		.amdhsa_next_free_sgpr 92
		.amdhsa_accum_offset 40
		.amdhsa_reserve_vcc 1
		.amdhsa_reserve_flat_scratch 0
		.amdhsa_float_round_mode_32 0
		.amdhsa_float_round_mode_16_64 0
		.amdhsa_float_denorm_mode_32 3
		.amdhsa_float_denorm_mode_16_64 3
		.amdhsa_dx10_clamp 1
		.amdhsa_ieee_mode 1
		.amdhsa_fp16_overflow 0
		.amdhsa_tg_split 0
		.amdhsa_exception_fp_ieee_invalid_op 0
		.amdhsa_exception_fp_denorm_src 0
		.amdhsa_exception_fp_ieee_div_zero 0
		.amdhsa_exception_fp_ieee_overflow 0
		.amdhsa_exception_fp_ieee_underflow 0
		.amdhsa_exception_fp_ieee_inexact 0
		.amdhsa_exception_int_div_zero 0
	.end_amdhsa_kernel
	.section	.text._ZN9rocsolver6v33100L22stebz_bisection_kernelIfPfEEv15rocblas_erange_iT_T0_iiS5_iiPiPS4_lS6_lS6_lS6_S6_S7_S7_S7_S7_S6_S4_S4_,"axG",@progbits,_ZN9rocsolver6v33100L22stebz_bisection_kernelIfPfEEv15rocblas_erange_iT_T0_iiS5_iiPiPS4_lS6_lS6_lS6_S6_S7_S7_S7_S7_S6_S4_S4_,comdat
.Lfunc_end5:
	.size	_ZN9rocsolver6v33100L22stebz_bisection_kernelIfPfEEv15rocblas_erange_iT_T0_iiS5_iiPiPS4_lS6_lS6_lS6_S6_S7_S7_S7_S7_S6_S4_S4_, .Lfunc_end5-_ZN9rocsolver6v33100L22stebz_bisection_kernelIfPfEEv15rocblas_erange_iT_T0_iiS5_iiPiPS4_lS6_lS6_lS6_S6_S7_S7_S7_S7_S6_S4_S4_
                                        ; -- End function
	.section	.AMDGPU.csdata,"",@progbits
; Kernel info:
; codeLenInByte = 4432
; NumSgprs: 96
; NumVgprs: 38
; NumAgprs: 0
; TotalNumVgprs: 38
; ScratchSize: 0
; MemoryBound: 0
; FloatMode: 240
; IeeeMode: 1
; LDSByteSize: 4616 bytes/workgroup (compile time only)
; SGPRBlocks: 11
; VGPRBlocks: 4
; NumSGPRsForWavesPerEU: 96
; NumVGPRsForWavesPerEU: 38
; AccumOffset: 40
; Occupancy: 7
; WaveLimiterHint : 1
; COMPUTE_PGM_RSRC2:SCRATCH_EN: 0
; COMPUTE_PGM_RSRC2:USER_SGPR: 6
; COMPUTE_PGM_RSRC2:TRAP_HANDLER: 0
; COMPUTE_PGM_RSRC2:TGID_X_EN: 1
; COMPUTE_PGM_RSRC2:TGID_Y_EN: 1
; COMPUTE_PGM_RSRC2:TGID_Z_EN: 0
; COMPUTE_PGM_RSRC2:TIDIG_COMP_CNT: 0
; COMPUTE_PGM_RSRC3_GFX90A:ACCUM_OFFSET: 9
; COMPUTE_PGM_RSRC3_GFX90A:TG_SPLIT: 0
	.section	.text._ZN9rocsolver6v33100L22stebz_synthesis_kernelIfPfEEv15rocblas_erange_15rocblas_eorder_iiiT0_iiPiS6_PT_lS6_lS6_liS6_S8_S8_S8_S8_S6_S7_,"axG",@progbits,_ZN9rocsolver6v33100L22stebz_synthesis_kernelIfPfEEv15rocblas_erange_15rocblas_eorder_iiiT0_iiPiS6_PT_lS6_lS6_liS6_S8_S8_S8_S8_S6_S7_,comdat
	.globl	_ZN9rocsolver6v33100L22stebz_synthesis_kernelIfPfEEv15rocblas_erange_15rocblas_eorder_iiiT0_iiPiS6_PT_lS6_lS6_liS6_S8_S8_S8_S8_S6_S7_ ; -- Begin function _ZN9rocsolver6v33100L22stebz_synthesis_kernelIfPfEEv15rocblas_erange_15rocblas_eorder_iiiT0_iiPiS6_PT_lS6_lS6_liS6_S8_S8_S8_S8_S6_S7_
	.p2align	8
	.type	_ZN9rocsolver6v33100L22stebz_synthesis_kernelIfPfEEv15rocblas_erange_15rocblas_eorder_iiiT0_iiPiS6_PT_lS6_lS6_liS6_S8_S8_S8_S8_S6_S7_,@function
_ZN9rocsolver6v33100L22stebz_synthesis_kernelIfPfEEv15rocblas_erange_15rocblas_eorder_iiiT0_iiPiS6_PT_lS6_lS6_liS6_S8_S8_S8_S8_S6_S7_: ; @_ZN9rocsolver6v33100L22stebz_synthesis_kernelIfPfEEv15rocblas_erange_15rocblas_eorder_iiiT0_iiPiS6_PT_lS6_lS6_liS6_S8_S8_S8_S8_S6_S7_
; %bb.0:
	s_load_dword s0, s[4:5], 0xb4
	s_load_dword s1, s[4:5], 0x68
	s_waitcnt lgkmcnt(0)
	s_and_b32 s0, s0, 0xffff
	s_mul_i32 s6, s6, s0
	v_add_u32_e32 v8, s6, v0
	v_cmp_gt_i32_e32 vcc, s1, v8
	s_and_saveexec_b64 s[0:1], vcc
	s_cbranch_execz .LBB6_58
; %bb.1:
	s_load_dwordx16 s[8:23], s[4:5], 0x28
	v_ashrrev_i32_e32 v9, 31, v8
	v_lshlrev_b64 v[4:5], 2, v[8:9]
	s_waitcnt lgkmcnt(0)
	v_mov_b32_e32 v1, s11
	v_add_co_u32_e32 v0, vcc, s10, v4
	v_addc_co_u32_e32 v1, vcc, v1, v5, vcc
	global_load_dword v27, v[0:1], off
	v_mul_lo_u32 v6, v8, s15
	v_mul_lo_u32 v7, v9, s14
	v_mad_u64_u32 v[0:1], s[0:1], v8, s14, 0
	v_add3_u32 v1, v1, v6, v7
	v_mul_lo_u32 v13, v8, s19
	v_mul_lo_u32 v14, v9, s18
	v_mad_u64_u32 v[2:3], s[0:1], v8, s18, 0
	v_lshlrev_b64 v[6:7], 2, v[0:1]
	s_load_dwordx4 s[36:39], s[4:5], 0x0
	s_load_dword s33, s[4:5], 0x10
	s_load_dwordx8 s[24:31], s[4:5], 0x70
	v_mov_b32_e32 v16, s13
	v_mul_lo_u32 v15, v8, s23
	v_mul_lo_u32 v9, v9, s22
	v_mad_u64_u32 v[10:11], s[0:1], v8, s22, 0
	v_add3_u32 v3, v3, v13, v14
	v_add_co_u32_e32 v0, vcc, s12, v6
	v_add3_u32 v11, v11, v15, v9
	v_lshlrev_b64 v[14:15], 2, v[2:3]
	v_addc_co_u32_e32 v1, vcc, v16, v7, vcc
	v_mov_b32_e32 v17, s17
	v_add_co_u32_e32 v2, vcc, s16, v14
	s_waitcnt lgkmcnt(0)
	v_mul_lo_u32 v12, v8, s38
	v_lshlrev_b64 v[10:11], 2, v[10:11]
	v_addc_co_u32_e32 v3, vcc, v17, v15, vcc
	v_mov_b32_e32 v18, s21
	v_ashrrev_i32_e32 v13, 31, v12
	v_add_co_u32_e32 v24, vcc, s20, v10
	v_lshlrev_b64 v[12:13], 2, v[12:13]
	v_addc_co_u32_e32 v25, vcc, v18, v11, vcc
	v_mov_b32_e32 v19, s25
	v_add_co_u32_e32 v9, vcc, s24, v12
	v_addc_co_u32_e32 v28, vcc, v19, v13, vcc
	s_cmpk_eq_i32 s36, 0xe9
	s_waitcnt vmcnt(0)
	v_cmp_lt_i32_e32 vcc, 0, v27
	v_cmp_gt_i32_e64 s[0:1], 1, v27
	s_cbranch_scc1 .LBB6_11
; %bb.2:
	v_mov_b32_e32 v12, 0
	s_and_saveexec_b64 s[2:3], vcc
	s_cbranch_execz .LBB6_13
; %bb.3:
	v_add_co_u32_e32 v26, vcc, -4, v24
	s_mov_b32 s11, 0
	v_addc_co_u32_e32 v29, vcc, -1, v25, vcc
	s_mov_b64 s[6:7], 0
	v_mov_b32_e32 v12, 0
	s_mov_b32 s10, s11
	s_branch .LBB6_5
.LBB6_4:                                ;   in Loop: Header=BB6_5 Depth=1
	s_or_b64 exec, exec, s[14:15]
	s_add_i32 s10, s10, 1
	v_cmp_eq_u32_e32 vcc, s10, v27
	s_or_b64 s[6:7], vcc, s[6:7]
	s_andn2_b64 exec, exec, s[6:7]
	s_cbranch_execz .LBB6_12
.LBB6_5:                                ; =>This Loop Header: Depth=1
                                        ;     Child Loop BB6_9 Depth 2
	s_cmp_eq_u32 s10, 0
	s_mov_b64 s[14:15], 0
	v_mov_b32_e32 v16, 0
	s_cbranch_scc1 .LBB6_7
; %bb.6:                                ;   in Loop: Header=BB6_5 Depth=1
	s_lshl_b64 s[14:15], s[10:11], 2
	v_mov_b32_e32 v11, s15
	v_add_co_u32_e32 v10, vcc, s14, v26
	v_addc_co_u32_e32 v11, vcc, v29, v11, vcc
	global_load_dword v16, v[10:11], off
	s_mov_b64 s[14:15], s[10:11]
.LBB6_7:                                ;   in Loop: Header=BB6_5 Depth=1
	s_lshl_b64 s[14:15], s[14:15], 2
	v_mov_b32_e32 v11, s15
	v_add_co_u32_e32 v10, vcc, s14, v9
	v_addc_co_u32_e32 v11, vcc, v28, v11, vcc
	global_load_dword v13, v[10:11], off
	s_waitcnt vmcnt(0)
	v_cmp_lt_i32_e32 vcc, 0, v13
	s_and_saveexec_b64 s[14:15], vcc
	s_cbranch_execz .LBB6_4
; %bb.8:                                ;   in Loop: Header=BB6_5 Depth=1
	v_ashrrev_i32_e32 v17, 31, v16
	v_ashrrev_i32_e32 v13, 31, v12
	v_lshlrev_b64 v[16:17], 2, v[16:17]
	v_lshlrev_b64 v[18:19], 2, v[12:13]
	s_mov_b32 s20, 0
	s_mov_b64 s[18:19], 0
	v_pk_mov_b32 v[20:21], v[2:3], v[2:3] op_sel:[0,1]
	v_pk_mov_b32 v[22:23], v[0:1], v[0:1] op_sel:[0,1]
.LBB6_9:                                ;   Parent Loop BB6_5 Depth=1
                                        ; =>  This Inner Loop Header: Depth=2
	v_add_co_u32_e32 v30, vcc, v20, v16
	v_addc_co_u32_e32 v31, vcc, v21, v17, vcc
	global_load_dword v13, v[30:31], off
	v_add_co_u32_e32 v30, vcc, v20, v18
	v_addc_co_u32_e32 v31, vcc, v21, v19, vcc
	v_add_co_u32_e32 v32, vcc, v22, v16
	v_addc_co_u32_e32 v33, vcc, v23, v17, vcc
	global_load_dword v32, v[32:33], off
	s_add_i32 s20, s20, 1
	s_waitcnt vmcnt(1)
	global_store_dword v[30:31], v13, off
	global_load_dword v34, v[10:11], off
	v_add_co_u32_e32 v30, vcc, v22, v18
	v_addc_co_u32_e32 v31, vcc, v23, v19, vcc
	v_add_co_u32_e32 v22, vcc, 4, v22
	v_addc_co_u32_e32 v23, vcc, 0, v23, vcc
	;; [unrolled: 2-line block ×3, first 2 shown]
	v_add_u32_e32 v13, s20, v12
	s_waitcnt vmcnt(2)
	global_store_dword v[30:31], v32, off
	s_waitcnt vmcnt(1)
	v_cmp_ge_i32_e32 vcc, s20, v34
	s_or_b64 s[18:19], vcc, s[18:19]
	s_andn2_b64 exec, exec, s[18:19]
	s_cbranch_execnz .LBB6_9
; %bb.10:                               ;   in Loop: Header=BB6_5 Depth=1
	s_or_b64 exec, exec, s[18:19]
	v_mov_b32_e32 v12, v13
	s_branch .LBB6_4
.LBB6_11:
                                        ; implicit-def: $vgpr12
	s_branch .LBB6_14
.LBB6_12:
	s_or_b64 exec, exec, s[6:7]
.LBB6_13:
	s_or_b64 exec, exec, s[2:3]
	s_cbranch_execnz .LBB6_50
.LBB6_14:
	v_mov_b32_e32 v11, s27
	v_add_co_u32_e32 v10, vcc, s26, v4
	v_addc_co_u32_e32 v11, vcc, v11, v5, vcc
	global_load_dword v26, v[10:11], off
	s_load_dwordx4 s[20:23], s[4:5], 0x90
	v_lshlrev_b32_e32 v16, 1, v8
	v_mul_lo_u32 v12, v16, s38
	v_ashrrev_i32_e32 v13, 31, v12
                                        ; implicit-def: $sgpr10
                                        ; implicit-def: $sgpr6_sgpr7
	s_and_saveexec_b64 s[2:3], s[0:1]
	s_xor_b64 s[0:1], exec, s[2:3]
; %bb.15:
	s_ashr_i32 s7, s38, 31
	s_mov_b32 s6, s38
	s_mov_b32 s10, 0
                                        ; implicit-def: $vgpr27
                                        ; implicit-def: $vgpr9
                                        ; implicit-def: $vgpr28
                                        ; implicit-def: $vgpr24
                                        ; implicit-def: $vgpr25
                                        ; implicit-def: $vgpr14_vgpr15
; %bb.16:
	s_or_saveexec_b64 s[2:3], s[0:1]
	v_mov_b32_e32 v10, s10
	v_pk_mov_b32 v[18:19], s[6:7], s[6:7] op_sel:[0,1]
	v_lshlrev_b64 v[12:13], 2, v[12:13]
	s_xor_b64 exec, exec, s[2:3]
	s_cbranch_execz .LBB6_26
; %bb.17:
	v_add_co_u32_e32 v17, vcc, -4, v24
	v_addc_co_u32_e32 v29, vcc, -1, v25, vcc
	v_mov_b32_e32 v10, s13
	v_add_co_u32_e32 v30, vcc, s12, v6
	v_addc_co_u32_e32 v31, vcc, v10, v7, vcc
	v_mov_b32_e32 v10, s17
	v_add_co_u32_e32 v32, vcc, s16, v14
	v_addc_co_u32_e32 v33, vcc, v10, v15, vcc
	s_waitcnt lgkmcnt(0)
	v_mov_b32_e32 v10, s21
	v_add_co_u32_e32 v34, vcc, s20, v12
	v_addc_co_u32_e32 v35, vcc, v10, v13, vcc
	s_ashr_i32 s7, s38, 31
	s_mov_b32 s6, s38
	v_mov_b32_e32 v10, s23
	v_add_co_u32_e32 v36, vcc, s22, v12
	s_mov_b32 s19, 0
	s_lshl_b64 s[10:11], s[6:7], 2
	v_addc_co_u32_e32 v37, vcc, v10, v13, vcc
	s_mov_b64 s[14:15], 0
	v_mov_b32_e32 v10, 0
	s_mov_b32 s18, s19
	s_branch .LBB6_19
.LBB6_18:                               ;   in Loop: Header=BB6_19 Depth=1
	s_or_b64 exec, exec, s[24:25]
	s_add_i32 s18, s18, 1
	v_cmp_eq_u32_e32 vcc, s18, v27
	s_or_b64 s[14:15], vcc, s[14:15]
	s_andn2_b64 exec, exec, s[14:15]
	s_cbranch_execz .LBB6_25
.LBB6_19:                               ; =>This Loop Header: Depth=1
                                        ;     Child Loop BB6_23 Depth 2
	s_cmp_eq_u32 s18, 0
	s_mov_b64 s[0:1], 0
	v_mov_b32_e32 v18, 0
	s_cbranch_scc1 .LBB6_21
; %bb.20:                               ;   in Loop: Header=BB6_19 Depth=1
	s_lshl_b64 s[0:1], s[18:19], 2
	v_mov_b32_e32 v11, s1
	v_add_co_u32_e32 v14, vcc, s0, v17
	v_addc_co_u32_e32 v15, vcc, v29, v11, vcc
	global_load_dword v18, v[14:15], off
	s_mov_b64 s[0:1], s[18:19]
.LBB6_21:                               ;   in Loop: Header=BB6_19 Depth=1
	s_lshl_b64 s[0:1], s[0:1], 2
	v_mov_b32_e32 v11, s1
	v_add_co_u32_e32 v14, vcc, s0, v9
	v_addc_co_u32_e32 v15, vcc, v28, v11, vcc
	global_load_dword v11, v[14:15], off
	s_waitcnt vmcnt(0)
	v_cmp_lt_i32_e32 vcc, 0, v11
	s_and_saveexec_b64 s[24:25], vcc
	s_cbranch_execz .LBB6_18
; %bb.22:                               ;   in Loop: Header=BB6_19 Depth=1
	v_ashrrev_i32_e32 v19, 31, v18
	v_lshlrev_b64 v[20:21], 2, v[18:19]
	v_add_co_u32_e32 v18, vcc, v30, v20
	v_addc_co_u32_e32 v19, vcc, v31, v21, vcc
	v_add_co_u32_e32 v20, vcc, v32, v20
	v_ashrrev_i32_e32 v11, 31, v10
	v_addc_co_u32_e32 v21, vcc, v33, v21, vcc
	v_lshlrev_b64 v[24:25], 2, v[10:11]
	v_add_co_u32_e32 v22, vcc, v34, v24
	v_addc_co_u32_e32 v23, vcc, v35, v25, vcc
	v_add_co_u32_e32 v24, vcc, v36, v24
	v_addc_co_u32_e32 v25, vcc, v37, v25, vcc
	s_mov_b32 s34, 0
	s_mov_b64 s[26:27], 0
.LBB6_23:                               ;   Parent Loop BB6_19 Depth=1
                                        ; =>  This Inner Loop Header: Depth=2
	global_load_dword v11, v[20:21], off
	s_add_i32 s34, s34, 1
	s_waitcnt vmcnt(0)
	global_store_dword v[24:25], v11, off
	global_load_dword v40, v[14:15], off
	global_load_dword v41, v[18:19], off
	v_add_co_u32_e32 v18, vcc, 4, v18
	v_addc_co_u32_e32 v19, vcc, 0, v19, vcc
	v_add_co_u32_e32 v20, vcc, 4, v20
	v_addc_co_u32_e32 v21, vcc, 0, v21, vcc
	v_mov_b32_e32 v11, s11
	v_add_co_u32_e32 v38, vcc, s10, v22
	v_addc_co_u32_e32 v39, vcc, v23, v11, vcc
	v_add_u32_e32 v11, s34, v10
	s_waitcnt vmcnt(0)
	global_store_dword v[22:23], v41, off
	global_store_dword v[38:39], v41, off
	v_add_co_u32_e32 v22, vcc, 4, v22
	v_addc_co_u32_e32 v23, vcc, 0, v23, vcc
	v_add_co_u32_e32 v24, vcc, 4, v24
	v_cmp_ge_i32_e64 s[0:1], s34, v40
	s_or_b64 s[26:27], s[0:1], s[26:27]
	v_addc_co_u32_e32 v25, vcc, 0, v25, vcc
	s_andn2_b64 exec, exec, s[26:27]
	s_cbranch_execnz .LBB6_23
; %bb.24:                               ;   in Loop: Header=BB6_19 Depth=1
	s_or_b64 exec, exec, s[26:27]
	v_mov_b32_e32 v10, v11
	s_branch .LBB6_18
.LBB6_25:
	s_or_b64 exec, exec, s[14:15]
	v_pk_mov_b32 v[18:19], s[6:7], s[6:7] op_sel:[0,1]
.LBB6_26:
	s_or_b64 exec, exec, s[2:3]
	s_waitcnt lgkmcnt(0)
	v_mov_b32_e32 v9, s21
	v_add_co_u32_e32 v11, vcc, s20, v12
	v_addc_co_u32_e32 v24, vcc, v9, v13, vcc
	v_mov_b32_e32 v9, s23
	v_add_co_u32_e32 v25, vcc, s22, v12
	v_addc_co_u32_e32 v27, vcc, v9, v13, vcc
	v_lshlrev_b64 v[18:19], 2, v[18:19]
	v_add_co_u32_e32 v14, vcc, v11, v18
	v_addc_co_u32_e32 v15, vcc, v24, v19, vcc
	s_mov_b32 s2, 1
	v_cmp_lt_i32_e32 vcc, 1, v10
	s_and_saveexec_b64 s[6:7], vcc
	s_cbranch_execz .LBB6_34
; %bb.27:
	v_add_co_u32_e32 v9, vcc, v25, v18
	v_addc_co_u32_e32 v17, vcc, v27, v19, vcc
	v_add_co_u32_e32 v28, vcc, -4, v14
	v_addc_co_u32_e32 v29, vcc, -1, v15, vcc
	v_add_co_u32_e32 v30, vcc, -4, v9
	v_addc_co_u32_e32 v31, vcc, -1, v17, vcc
	v_add_co_u32_e32 v12, vcc, v18, v12
	v_addc_co_u32_e32 v13, vcc, v19, v13, vcc
	s_cmp_lg_u64 s[22:23], 0
	v_mov_b32_e32 v18, s21
	v_add_co_u32_e32 v12, vcc, s20, v12
	v_addc_co_u32_e32 v13, vcc, v13, v18, vcc
	s_cselect_b64 s[0:1], -1, 0
	v_add_co_u32_e32 v12, vcc, 4, v12
	v_cndmask_b32_e64 v18, 0, 1, s[0:1]
	s_mov_b64 s[10:11], 0
	v_addc_co_u32_e32 v13, vcc, 0, v13, vcc
	v_cmp_ne_u32_e64 s[0:1], 1, v18
	s_branch .LBB6_29
.LBB6_28:                               ;   in Loop: Header=BB6_29 Depth=1
	s_or_b64 exec, exec, s[18:19]
	s_add_i32 s2, s2, 1
	v_cmp_eq_u32_e32 vcc, s2, v10
	s_or_b64 s[10:11], vcc, s[10:11]
	v_add_co_u32_e32 v12, vcc, 4, v12
	v_addc_co_u32_e32 v13, vcc, 0, v13, vcc
	s_andn2_b64 exec, exec, s[10:11]
	s_cbranch_execz .LBB6_34
.LBB6_29:                               ; =>This Loop Header: Depth=1
                                        ;     Child Loop BB6_30 Depth 2
	s_ashr_i32 s3, s2, 31
	s_lshl_b64 s[14:15], s[2:3], 2
	v_mov_b32_e32 v19, s15
	v_add_co_u32_e32 v18, vcc, s14, v28
	v_addc_co_u32_e32 v19, vcc, v29, v19, vcc
	global_load_dword v32, v[18:19], off
	s_add_i32 s3, s2, -1
	v_mov_b32_e32 v20, s3
	s_mov_b64 s[18:19], 0
	v_pk_mov_b32 v[22:23], v[12:13], v[12:13] op_sel:[0,1]
	s_mov_b32 s20, s2
	s_waitcnt vmcnt(0)
	v_mov_b32_e32 v33, v32
.LBB6_30:                               ;   Parent Loop BB6_29 Depth=1
                                        ; =>  This Inner Loop Header: Depth=2
	global_load_dword v21, v[22:23], off
	v_add_co_u32_e32 v22, vcc, 4, v22
	v_mov_b32_e32 v34, s20
	s_add_i32 s20, s20, 1
	v_addc_co_u32_e32 v23, vcc, 0, v23, vcc
	v_cmp_ge_i32_e32 vcc, s20, v10
	s_or_b64 s[18:19], vcc, s[18:19]
	s_waitcnt vmcnt(0)
	v_cmp_lt_f32_e32 vcc, v21, v33
	v_cndmask_b32_e32 v33, v33, v21, vcc
	v_cndmask_b32_e32 v20, v20, v34, vcc
	s_andn2_b64 exec, exec, s[18:19]
	s_cbranch_execnz .LBB6_30
; %bb.31:                               ;   in Loop: Header=BB6_29 Depth=1
	s_or_b64 exec, exec, s[18:19]
	v_cmp_ne_u32_e32 vcc, s3, v20
	s_and_saveexec_b64 s[18:19], vcc
	s_cbranch_execz .LBB6_28
; %bb.32:                               ;   in Loop: Header=BB6_29 Depth=1
	v_ashrrev_i32_e32 v21, 31, v20
	v_lshlrev_b64 v[20:21], 2, v[20:21]
	v_add_co_u32_e32 v22, vcc, v14, v20
	v_addc_co_u32_e32 v23, vcc, v15, v21, vcc
	s_and_b64 vcc, exec, s[0:1]
	global_store_dword v[22:23], v32, off
	global_store_dword v[18:19], v33, off
	s_cbranch_vccnz .LBB6_28
; %bb.33:                               ;   in Loop: Header=BB6_29 Depth=1
	v_mov_b32_e32 v19, s15
	v_add_co_u32_e32 v18, vcc, s14, v30
	v_addc_co_u32_e32 v19, vcc, v31, v19, vcc
	v_add_co_u32_e32 v20, vcc, v9, v20
	v_addc_co_u32_e32 v21, vcc, v17, v21, vcc
	global_load_dword v22, v[18:19], off
	global_load_dword v23, v[20:21], off
	s_waitcnt vmcnt(1)
	global_store_dword v[20:21], v22, off
	s_waitcnt vmcnt(1)
	global_store_dword v[18:19], v23, off
	s_branch .LBB6_28
.LBB6_34:
	s_or_b64 exec, exec, s[6:7]
	s_mov_b32 s11, 0
	v_cmp_lt_i32_e32 vcc, 0, v10
	v_mov_b32_e32 v12, 0
	s_and_saveexec_b64 s[6:7], vcc
	s_cbranch_execz .LBB6_49
; %bb.35:
	s_load_dwordx4 s[0:3], s[4:5], 0x18
	v_ashrrev_i32_e32 v17, 31, v16
	v_add_u32_e32 v30, -1, v10
	s_mov_b32 s10, s11
	s_waitcnt lgkmcnt(0)
	s_ashr_i32 s5, s2, 31
	s_mov_b32 s4, s2
	v_mad_i64_i32 v[12:13], s[2:3], v8, s3, 0
	s_lshl_b64 s[2:3], s[4:5], 2
	s_add_u32 s0, s0, s2
	v_lshlrev_b64 v[12:13], 2, v[12:13]
	s_addc_u32 s1, s1, s3
	s_add_i32 s26, s38, -1
	v_mov_b32_e32 v9, s1
	v_add_co_u32_e32 v18, vcc, s0, v12
	v_mul_lo_u32 v8, v8, s26
	v_addc_co_u32_e32 v19, vcc, v9, v13, vcc
	v_ashrrev_i32_e32 v9, 31, v8
	v_lshlrev_b64 v[8:9], 2, v[8:9]
	v_mov_b32_e32 v12, s29
	v_add_co_u32_e32 v8, vcc, s28, v8
	v_addc_co_u32_e32 v9, vcc, v12, v9, vcc
	v_lshlrev_b64 v[12:13], 2, v[16:17]
	v_mov_b32_e32 v16, s31
	v_add_co_u32_e32 v28, vcc, s30, v12
	s_cmp_gt_i32 s38, 1
	v_addc_co_u32_e32 v29, vcc, v16, v13, vcc
	s_cselect_b64 s[0:1], -1, 0
	v_add_co_u32_e32 v16, vcc, 4, v18
	v_cndmask_b32_e64 v13, 0, 1, s[0:1]
	v_addc_co_u32_e32 v17, vcc, 0, v19, vcc
	s_mov_b64 s[4:5], 0
	v_mov_b32_e32 v12, 0
	v_cmp_ne_u32_e64 s[0:1], 1, v13
	s_branch .LBB6_38
.LBB6_36:                               ;   in Loop: Header=BB6_38 Depth=1
	s_or_b64 exec, exec, s[2:3]
.LBB6_37:                               ;   in Loop: Header=BB6_38 Depth=1
	s_or_b64 exec, exec, s[18:19]
	s_add_i32 s10, s10, 1
	v_cmp_eq_u32_e32 vcc, s10, v10
	s_or_b64 s[4:5], vcc, s[4:5]
	s_andn2_b64 exec, exec, s[4:5]
	s_cbranch_execz .LBB6_48
.LBB6_38:                               ; =>This Loop Header: Depth=1
                                        ;     Child Loop BB6_40 Depth 2
                                        ;     Child Loop BB6_45 Depth 2
	s_lshl_b64 s[14:15], s[10:11], 2
	v_mov_b32_e32 v13, s15
	v_add_co_u32_e32 v20, vcc, s14, v11
	v_addc_co_u32_e32 v21, vcc, v24, v13, vcc
	global_load_dword v31, v[20:21], off
	s_mov_b32 s27, 0
	s_mov_b64 s[18:19], 0
	v_pk_mov_b32 v[22:23], v[14:15], v[14:15] op_sel:[0,1]
                                        ; implicit-def: $sgpr2_sgpr3
                                        ; implicit-def: $sgpr22_sgpr23
                                        ; implicit-def: $sgpr20_sgpr21
	s_branch .LBB6_40
.LBB6_39:                               ;   in Loop: Header=BB6_40 Depth=2
	s_or_b64 exec, exec, s[24:25]
	s_and_b64 s[24:25], exec, s[22:23]
	s_or_b64 s[18:19], s[24:25], s[18:19]
	s_andn2_b64 s[2:3], s[2:3], exec
	s_and_b64 s[24:25], s[20:21], exec
	v_mov_b32_e32 v32, s27
	s_or_b64 s[2:3], s[2:3], s[24:25]
	s_mov_b32 s27, s28
	s_andn2_b64 exec, exec, s[18:19]
	s_cbranch_execz .LBB6_42
.LBB6_40:                               ;   Parent Loop BB6_38 Depth=1
                                        ; =>  This Inner Loop Header: Depth=2
	global_load_dword v13, v[22:23], off
	v_pk_mov_b32 v[20:21], v[22:23], v[22:23] op_sel:[0,1]
	s_or_b64 s[20:21], s[20:21], exec
	s_or_b64 s[22:23], s[22:23], exec
                                        ; implicit-def: $sgpr28
                                        ; implicit-def: $vgpr22_vgpr23
	s_waitcnt vmcnt(0)
	v_cmp_neq_f32_e32 vcc, v31, v13
	s_and_saveexec_b64 s[24:25], vcc
	s_cbranch_execz .LBB6_39
; %bb.41:                               ;   in Loop: Header=BB6_40 Depth=2
	v_add_co_u32_e32 v22, vcc, 4, v20
	s_add_i32 s28, s27, 1
	v_addc_co_u32_e32 v23, vcc, 0, v21, vcc
	v_cmp_eq_u32_e32 vcc, s28, v10
	s_andn2_b64 s[22:23], s[22:23], exec
	s_and_b64 s[30:31], vcc, exec
	s_andn2_b64 s[20:21], s[20:21], exec
	s_or_b64 s[22:23], s[22:23], s[30:31]
	s_branch .LBB6_39
.LBB6_42:                               ;   in Loop: Header=BB6_38 Depth=1
	s_or_b64 exec, exec, s[18:19]
	s_and_saveexec_b64 s[18:19], s[2:3]
	s_xor_b64 s[18:19], exec, s[18:19]
	s_cbranch_execz .LBB6_37
; %bb.43:                               ;   in Loop: Header=BB6_38 Depth=1
	v_cmp_eq_u32_e32 vcc, v32, v30
	v_cndmask_b32_e32 v21, v21, v29, vcc
	v_cndmask_b32_e32 v20, v20, v28, vcc
	global_load_dword v22, v[20:21], off offset:4
	global_load_dword v23, v[18:19], off
	s_and_b64 vcc, exec, s[0:1]
	s_waitcnt vmcnt(1)
	v_sub_f32_e32 v13, v22, v13
	v_fma_f32 v32, 0.5, v13, v31
	s_waitcnt vmcnt(0)
	v_sub_f32_e32 v20, v23, v32
	v_cmp_le_f32_e64 s[2:3], v20, v26
	v_cndmask_b32_e64 v13, 0, 1, s[2:3]
	s_cbranch_vccnz .LBB6_46
; %bb.44:                               ;   in Loop: Header=BB6_38 Depth=1
	v_cmp_gt_f32_e64 s[20:21], v20, -v26
	s_and_b64 s[2:3], s[2:3], s[20:21]
	v_cndmask_b32_e64 v33, v20, -v26, s[2:3]
	v_pk_mov_b32 v[20:21], v[16:17], v[16:17] op_sel:[0,1]
	v_pk_mov_b32 v[22:23], v[8:9], v[8:9] op_sel:[0,1]
	s_mov_b32 s20, s26
.LBB6_45:                               ;   Parent Loop BB6_38 Depth=1
                                        ; =>  This Inner Loop Header: Depth=2
	global_load_dword v34, v[22:23], off
	global_load_dword v35, v[20:21], off
	v_add_co_u32_e32 v22, vcc, 4, v22
	v_addc_co_u32_e32 v23, vcc, 0, v23, vcc
	v_add_co_u32_e32 v20, vcc, 4, v20
	v_addc_co_u32_e32 v21, vcc, 0, v21, vcc
	s_add_i32 s20, s20, -1
	s_waitcnt vmcnt(1)
	v_div_scale_f32 v36, s[2:3], v33, v33, v34
	v_rcp_f32_e32 v38, v36
	v_div_scale_f32 v37, vcc, v34, v33, v34
	s_waitcnt vmcnt(0)
	v_sub_f32_e32 v35, v35, v32
	v_fma_f32 v39, -v36, v38, 1.0
	v_fmac_f32_e32 v38, v39, v38
	v_mul_f32_e32 v39, v37, v38
	v_fma_f32 v40, -v36, v39, v37
	v_fmac_f32_e32 v39, v40, v38
	v_fma_f32 v36, -v36, v39, v37
	v_div_fmas_f32 v36, v36, v38, v39
	v_div_fixup_f32 v33, v36, v33, v34
	v_sub_f32_e32 v33, v35, v33
	v_cmp_le_f32_e32 vcc, v33, v26
	v_cmp_gt_f32_e64 s[22:23], v33, -v26
	v_addc_co_u32_e64 v13, s[2:3], 0, v13, vcc
	s_and_b64 s[2:3], vcc, s[22:23]
	s_cmp_lg_u32 s20, 0
	v_cndmask_b32_e64 v33, v33, -v26, s[2:3]
	s_cbranch_scc1 .LBB6_45
.LBB6_46:                               ;   in Loop: Header=BB6_38 Depth=1
	v_cmp_le_i32_e32 vcc, s39, v13
	v_cmp_ge_i32_e64 s[2:3], s33, v13
	s_and_b64 s[20:21], vcc, s[2:3]
	s_and_saveexec_b64 s[2:3], s[20:21]
	s_cbranch_execz .LBB6_36
; %bb.47:                               ;   in Loop: Header=BB6_38 Depth=1
	v_mov_b32_e32 v13, s15
	v_add_co_u32_e32 v20, vcc, s14, v25
	v_addc_co_u32_e32 v21, vcc, v27, v13, vcc
	global_load_dword v32, v[20:21], off
	v_ashrrev_i32_e32 v13, 31, v12
	v_lshlrev_b64 v[20:21], 2, v[12:13]
	v_add_co_u32_e32 v22, vcc, v0, v20
	v_addc_co_u32_e32 v23, vcc, v1, v21, vcc
	v_add_co_u32_e32 v20, vcc, v2, v20
	v_add_u32_e32 v12, 1, v12
	v_addc_co_u32_e32 v21, vcc, v3, v21, vcc
	global_store_dword v[22:23], v31, off
	s_waitcnt vmcnt(1)
	global_store_dword v[20:21], v32, off
	s_branch .LBB6_36
.LBB6_48:
	s_or_b64 exec, exec, s[4:5]
.LBB6_49:
	s_or_b64 exec, exec, s[6:7]
.LBB6_50:
	v_mov_b32_e32 v8, s9
	v_add_co_u32_e32 v4, vcc, s8, v4
	v_addc_co_u32_e32 v5, vcc, v8, v5, vcc
	s_cmpk_eq_i32 s37, 0xf2
	s_cselect_b64 s[0:1], -1, 0
	v_cmp_lt_i32_e32 vcc, 1, v12
	s_mov_b32 s2, 1
	s_and_b64 s[0:1], s[0:1], vcc
	global_store_dword v[4:5], v12, off
	s_and_b64 exec, exec, s[0:1]
	s_cbranch_execz .LBB6_58
; %bb.51:
	v_add_co_u32_e32 v13, vcc, -4, v0
	v_addc_co_u32_e32 v14, vcc, -1, v1, vcc
	v_add_co_u32_e32 v15, vcc, -4, v2
	v_addc_co_u32_e32 v16, vcc, -1, v3, vcc
	v_mov_b32_e32 v4, s13
	v_add_co_u32_e32 v5, vcc, s12, v6
	s_cmp_lg_u64 s[16:17], 0
	v_addc_co_u32_e32 v6, vcc, v7, v4, vcc
	v_add_co_u32_e32 v4, vcc, 4, v5
	s_cselect_b64 s[0:1], -1, 0
	v_addc_co_u32_e32 v5, vcc, 0, v6, vcc
	v_cndmask_b32_e64 v6, 0, 1, s[0:1]
	s_mov_b64 s[4:5], 0
	v_cmp_ne_u32_e64 s[0:1], 1, v6
	s_branch .LBB6_53
.LBB6_52:                               ;   in Loop: Header=BB6_53 Depth=1
	s_or_b64 exec, exec, s[8:9]
	s_add_i32 s2, s2, 1
	v_cmp_eq_u32_e32 vcc, s2, v12
	s_or_b64 s[4:5], vcc, s[4:5]
	v_add_co_u32_e32 v4, vcc, 4, v4
	v_addc_co_u32_e32 v5, vcc, 0, v5, vcc
	s_andn2_b64 exec, exec, s[4:5]
	s_cbranch_execz .LBB6_58
.LBB6_53:                               ; =>This Loop Header: Depth=1
                                        ;     Child Loop BB6_54 Depth 2
	s_ashr_i32 s3, s2, 31
	s_lshl_b64 s[6:7], s[2:3], 2
	v_mov_b32_e32 v7, s7
	v_add_co_u32_e32 v6, vcc, s6, v13
	v_addc_co_u32_e32 v7, vcc, v14, v7, vcc
	global_load_dword v17, v[6:7], off
	s_add_i32 s3, s2, -1
	v_mov_b32_e32 v8, s3
	s_mov_b64 s[8:9], 0
	v_pk_mov_b32 v[10:11], v[4:5], v[4:5] op_sel:[0,1]
	s_mov_b32 s10, s2
	s_waitcnt vmcnt(0)
	v_mov_b32_e32 v18, v17
.LBB6_54:                               ;   Parent Loop BB6_53 Depth=1
                                        ; =>  This Inner Loop Header: Depth=2
	global_load_dword v9, v[10:11], off
	v_add_co_u32_e32 v10, vcc, 4, v10
	v_mov_b32_e32 v19, s10
	s_add_i32 s10, s10, 1
	v_addc_co_u32_e32 v11, vcc, 0, v11, vcc
	v_cmp_ge_i32_e32 vcc, s10, v12
	s_or_b64 s[8:9], vcc, s[8:9]
	s_waitcnt vmcnt(0)
	v_cmp_lt_f32_e32 vcc, v9, v18
	v_cndmask_b32_e32 v18, v18, v9, vcc
	v_cndmask_b32_e32 v8, v8, v19, vcc
	s_andn2_b64 exec, exec, s[8:9]
	s_cbranch_execnz .LBB6_54
; %bb.55:                               ;   in Loop: Header=BB6_53 Depth=1
	s_or_b64 exec, exec, s[8:9]
	v_cmp_ne_u32_e32 vcc, s3, v8
	s_and_saveexec_b64 s[8:9], vcc
	s_cbranch_execz .LBB6_52
; %bb.56:                               ;   in Loop: Header=BB6_53 Depth=1
	v_ashrrev_i32_e32 v9, 31, v8
	v_lshlrev_b64 v[8:9], 2, v[8:9]
	v_add_co_u32_e32 v10, vcc, v0, v8
	v_addc_co_u32_e32 v11, vcc, v1, v9, vcc
	s_and_b64 vcc, exec, s[0:1]
	global_store_dword v[10:11], v17, off
	global_store_dword v[6:7], v18, off
	s_cbranch_vccnz .LBB6_52
; %bb.57:                               ;   in Loop: Header=BB6_53 Depth=1
	v_mov_b32_e32 v7, s7
	v_add_co_u32_e32 v6, vcc, s6, v15
	v_addc_co_u32_e32 v7, vcc, v16, v7, vcc
	v_add_co_u32_e32 v8, vcc, v2, v8
	v_addc_co_u32_e32 v9, vcc, v3, v9, vcc
	global_load_dword v10, v[6:7], off
	global_load_dword v11, v[8:9], off
	s_waitcnt vmcnt(1)
	global_store_dword v[8:9], v10, off
	s_waitcnt vmcnt(1)
	global_store_dword v[6:7], v11, off
	s_branch .LBB6_52
.LBB6_58:
	s_endpgm
	.section	.rodata,"a",@progbits
	.p2align	6, 0x0
	.amdhsa_kernel _ZN9rocsolver6v33100L22stebz_synthesis_kernelIfPfEEv15rocblas_erange_15rocblas_eorder_iiiT0_iiPiS6_PT_lS6_lS6_liS6_S8_S8_S8_S8_S6_S7_
		.amdhsa_group_segment_fixed_size 0
		.amdhsa_private_segment_fixed_size 0
		.amdhsa_kernarg_size 424
		.amdhsa_user_sgpr_count 6
		.amdhsa_user_sgpr_private_segment_buffer 1
		.amdhsa_user_sgpr_dispatch_ptr 0
		.amdhsa_user_sgpr_queue_ptr 0
		.amdhsa_user_sgpr_kernarg_segment_ptr 1
		.amdhsa_user_sgpr_dispatch_id 0
		.amdhsa_user_sgpr_flat_scratch_init 0
		.amdhsa_user_sgpr_kernarg_preload_length 0
		.amdhsa_user_sgpr_kernarg_preload_offset 0
		.amdhsa_user_sgpr_private_segment_size 0
		.amdhsa_uses_dynamic_stack 0
		.amdhsa_system_sgpr_private_segment_wavefront_offset 0
		.amdhsa_system_sgpr_workgroup_id_x 1
		.amdhsa_system_sgpr_workgroup_id_y 0
		.amdhsa_system_sgpr_workgroup_id_z 0
		.amdhsa_system_sgpr_workgroup_info 0
		.amdhsa_system_vgpr_workitem_id 0
		.amdhsa_next_free_vgpr 42
		.amdhsa_next_free_sgpr 40
		.amdhsa_accum_offset 44
		.amdhsa_reserve_vcc 1
		.amdhsa_reserve_flat_scratch 0
		.amdhsa_float_round_mode_32 0
		.amdhsa_float_round_mode_16_64 0
		.amdhsa_float_denorm_mode_32 3
		.amdhsa_float_denorm_mode_16_64 3
		.amdhsa_dx10_clamp 1
		.amdhsa_ieee_mode 1
		.amdhsa_fp16_overflow 0
		.amdhsa_tg_split 0
		.amdhsa_exception_fp_ieee_invalid_op 0
		.amdhsa_exception_fp_denorm_src 0
		.amdhsa_exception_fp_ieee_div_zero 0
		.amdhsa_exception_fp_ieee_overflow 0
		.amdhsa_exception_fp_ieee_underflow 0
		.amdhsa_exception_fp_ieee_inexact 0
		.amdhsa_exception_int_div_zero 0
	.end_amdhsa_kernel
	.section	.text._ZN9rocsolver6v33100L22stebz_synthesis_kernelIfPfEEv15rocblas_erange_15rocblas_eorder_iiiT0_iiPiS6_PT_lS6_lS6_liS6_S8_S8_S8_S8_S6_S7_,"axG",@progbits,_ZN9rocsolver6v33100L22stebz_synthesis_kernelIfPfEEv15rocblas_erange_15rocblas_eorder_iiiT0_iiPiS6_PT_lS6_lS6_liS6_S8_S8_S8_S8_S6_S7_,comdat
.Lfunc_end6:
	.size	_ZN9rocsolver6v33100L22stebz_synthesis_kernelIfPfEEv15rocblas_erange_15rocblas_eorder_iiiT0_iiPiS6_PT_lS6_lS6_liS6_S8_S8_S8_S8_S6_S7_, .Lfunc_end6-_ZN9rocsolver6v33100L22stebz_synthesis_kernelIfPfEEv15rocblas_erange_15rocblas_eorder_iiiT0_iiPiS6_PT_lS6_lS6_liS6_S8_S8_S8_S8_S6_S7_
                                        ; -- End function
	.section	.AMDGPU.csdata,"",@progbits
; Kernel info:
; codeLenInByte = 2792
; NumSgprs: 44
; NumVgprs: 42
; NumAgprs: 0
; TotalNumVgprs: 42
; ScratchSize: 0
; MemoryBound: 0
; FloatMode: 240
; IeeeMode: 1
; LDSByteSize: 0 bytes/workgroup (compile time only)
; SGPRBlocks: 5
; VGPRBlocks: 5
; NumSGPRsForWavesPerEU: 44
; NumVGPRsForWavesPerEU: 42
; AccumOffset: 44
; Occupancy: 8
; WaveLimiterHint : 1
; COMPUTE_PGM_RSRC2:SCRATCH_EN: 0
; COMPUTE_PGM_RSRC2:USER_SGPR: 6
; COMPUTE_PGM_RSRC2:TRAP_HANDLER: 0
; COMPUTE_PGM_RSRC2:TGID_X_EN: 1
; COMPUTE_PGM_RSRC2:TGID_Y_EN: 0
; COMPUTE_PGM_RSRC2:TGID_Z_EN: 0
; COMPUTE_PGM_RSRC2:TIDIG_COMP_CNT: 0
; COMPUTE_PGM_RSRC3_GFX90A:ACCUM_OFFSET: 10
; COMPUTE_PGM_RSRC3_GFX90A:TG_SPLIT: 0
	.section	.text._ZN9rocsolver6v33100L15bdsvdx_abs_eigsIfEEviPiPT_lS4_,"axG",@progbits,_ZN9rocsolver6v33100L15bdsvdx_abs_eigsIfEEviPiPT_lS4_,comdat
	.globl	_ZN9rocsolver6v33100L15bdsvdx_abs_eigsIfEEviPiPT_lS4_ ; -- Begin function _ZN9rocsolver6v33100L15bdsvdx_abs_eigsIfEEviPiPT_lS4_
	.p2align	8
	.type	_ZN9rocsolver6v33100L15bdsvdx_abs_eigsIfEEviPiPT_lS4_,@function
_ZN9rocsolver6v33100L15bdsvdx_abs_eigsIfEEviPiPT_lS4_: ; @_ZN9rocsolver6v33100L15bdsvdx_abs_eigsIfEEviPiPT_lS4_
; %bb.0:
	s_mov_b32 s0, s7
	s_load_dwordx8 s[8:15], s[4:5], 0x8
	s_load_dword s7, s[4:5], 0x0
	s_ashr_i32 s1, s0, 31
	s_lshl_b64 s[2:3], s[0:1], 2
	s_waitcnt lgkmcnt(0)
	s_add_u32 s2, s8, s2
	s_addc_u32 s3, s9, s3
	s_load_dword s9, s[2:3], 0x0
	s_load_dword s8, s[4:5], 0x34
	s_waitcnt lgkmcnt(0)
	s_cmp_le_i32 s9, s7
	s_cbranch_scc1 .LBB7_2
; %bb.1:
	v_mov_b32_e32 v1, 0
	v_mov_b32_e32 v2, s7
	s_mov_b32 s9, s7
	global_store_dword v1, v2, s[2:3]
.LBB7_2:
	s_and_b32 s2, 0xffff, s8
	s_mul_i32 s6, s6, s2
	v_add_u32_e32 v0, s6, v0
	v_cmp_gt_i32_e32 vcc, s9, v0
	s_and_saveexec_b64 s[2:3], vcc
	s_cbranch_execz .LBB7_4
; %bb.3:
	s_mul_i32 s2, s0, s13
	s_mul_hi_u32 s3, s0, s12
	s_add_i32 s2, s3, s2
	s_mul_i32 s1, s1, s12
	s_add_i32 s3, s2, s1
	s_mul_i32 s2, s0, s12
	s_lshl_b64 s[2:3], s[2:3], 2
	s_add_u32 s2, s10, s2
	s_mul_i32 s0, s0, s7
	s_addc_u32 s3, s11, s3
	s_lshl_b32 s0, s0, 1
	s_ashr_i32 s1, s0, 31
	s_lshl_b64 s[0:1], s[0:1], 2
	s_add_u32 s0, s14, s0
	v_ashrrev_i32_e32 v1, 31, v0
	s_addc_u32 s1, s15, s1
	v_lshlrev_b64 v[0:1], 2, v[0:1]
	v_mov_b32_e32 v3, s1
	v_add_co_u32_e32 v2, vcc, s0, v0
	v_addc_co_u32_e32 v3, vcc, v3, v1, vcc
	global_load_dword v2, v[2:3], off
	v_mov_b32_e32 v3, s3
	v_add_co_u32_e32 v0, vcc, s2, v0
	v_addc_co_u32_e32 v1, vcc, v3, v1, vcc
	s_waitcnt vmcnt(0)
	v_xor_b32_e32 v2, 0x80000000, v2
	global_store_dword v[0:1], v2, off
.LBB7_4:
	s_endpgm
	.section	.rodata,"a",@progbits
	.p2align	6, 0x0
	.amdhsa_kernel _ZN9rocsolver6v33100L15bdsvdx_abs_eigsIfEEviPiPT_lS4_
		.amdhsa_group_segment_fixed_size 0
		.amdhsa_private_segment_fixed_size 0
		.amdhsa_kernarg_size 296
		.amdhsa_user_sgpr_count 6
		.amdhsa_user_sgpr_private_segment_buffer 1
		.amdhsa_user_sgpr_dispatch_ptr 0
		.amdhsa_user_sgpr_queue_ptr 0
		.amdhsa_user_sgpr_kernarg_segment_ptr 1
		.amdhsa_user_sgpr_dispatch_id 0
		.amdhsa_user_sgpr_flat_scratch_init 0
		.amdhsa_user_sgpr_kernarg_preload_length 0
		.amdhsa_user_sgpr_kernarg_preload_offset 0
		.amdhsa_user_sgpr_private_segment_size 0
		.amdhsa_uses_dynamic_stack 0
		.amdhsa_system_sgpr_private_segment_wavefront_offset 0
		.amdhsa_system_sgpr_workgroup_id_x 1
		.amdhsa_system_sgpr_workgroup_id_y 1
		.amdhsa_system_sgpr_workgroup_id_z 0
		.amdhsa_system_sgpr_workgroup_info 0
		.amdhsa_system_vgpr_workitem_id 0
		.amdhsa_next_free_vgpr 4
		.amdhsa_next_free_sgpr 16
		.amdhsa_accum_offset 4
		.amdhsa_reserve_vcc 1
		.amdhsa_reserve_flat_scratch 0
		.amdhsa_float_round_mode_32 0
		.amdhsa_float_round_mode_16_64 0
		.amdhsa_float_denorm_mode_32 3
		.amdhsa_float_denorm_mode_16_64 3
		.amdhsa_dx10_clamp 1
		.amdhsa_ieee_mode 1
		.amdhsa_fp16_overflow 0
		.amdhsa_tg_split 0
		.amdhsa_exception_fp_ieee_invalid_op 0
		.amdhsa_exception_fp_denorm_src 0
		.amdhsa_exception_fp_ieee_div_zero 0
		.amdhsa_exception_fp_ieee_overflow 0
		.amdhsa_exception_fp_ieee_underflow 0
		.amdhsa_exception_fp_ieee_inexact 0
		.amdhsa_exception_int_div_zero 0
	.end_amdhsa_kernel
	.section	.text._ZN9rocsolver6v33100L15bdsvdx_abs_eigsIfEEviPiPT_lS4_,"axG",@progbits,_ZN9rocsolver6v33100L15bdsvdx_abs_eigsIfEEviPiPT_lS4_,comdat
.Lfunc_end7:
	.size	_ZN9rocsolver6v33100L15bdsvdx_abs_eigsIfEEviPiPT_lS4_, .Lfunc_end7-_ZN9rocsolver6v33100L15bdsvdx_abs_eigsIfEEviPiPT_lS4_
                                        ; -- End function
	.section	.AMDGPU.csdata,"",@progbits
; Kernel info:
; codeLenInByte = 244
; NumSgprs: 20
; NumVgprs: 4
; NumAgprs: 0
; TotalNumVgprs: 4
; ScratchSize: 0
; MemoryBound: 0
; FloatMode: 240
; IeeeMode: 1
; LDSByteSize: 0 bytes/workgroup (compile time only)
; SGPRBlocks: 2
; VGPRBlocks: 0
; NumSGPRsForWavesPerEU: 20
; NumVGPRsForWavesPerEU: 4
; AccumOffset: 4
; Occupancy: 8
; WaveLimiterHint : 0
; COMPUTE_PGM_RSRC2:SCRATCH_EN: 0
; COMPUTE_PGM_RSRC2:USER_SGPR: 6
; COMPUTE_PGM_RSRC2:TRAP_HANDLER: 0
; COMPUTE_PGM_RSRC2:TGID_X_EN: 1
; COMPUTE_PGM_RSRC2:TGID_Y_EN: 1
; COMPUTE_PGM_RSRC2:TGID_Z_EN: 0
; COMPUTE_PGM_RSRC2:TIDIG_COMP_CNT: 0
; COMPUTE_PGM_RSRC3_GFX90A:ACCUM_OFFSET: 0
; COMPUTE_PGM_RSRC3_GFX90A:TG_SPLIT: 0
	.section	.text._ZN9rocsolver6v33100L12stein_kernelIffPfEEviPT0_lS4_lPiS4_lS5_lS5_lT1_iilS5_lS5_S4_S5_S3_S3_,"axG",@progbits,_ZN9rocsolver6v33100L12stein_kernelIffPfEEviPT0_lS4_lPiS4_lS5_lS5_lT1_iilS5_lS5_S4_S5_S3_S3_,comdat
	.globl	_ZN9rocsolver6v33100L12stein_kernelIffPfEEviPT0_lS4_lPiS4_lS5_lS5_lT1_iilS5_lS5_S4_S5_S3_S3_ ; -- Begin function _ZN9rocsolver6v33100L12stein_kernelIffPfEEviPT0_lS4_lPiS4_lS5_lS5_lT1_iilS5_lS5_S4_S5_S3_S3_
	.p2align	8
	.type	_ZN9rocsolver6v33100L12stein_kernelIffPfEEviPT0_lS4_lPiS4_lS5_lS5_lT1_iilS5_lS5_S4_S5_S3_S3_,@function
_ZN9rocsolver6v33100L12stein_kernelIffPfEEviPT0_lS4_lPiS4_lS5_lS5_lT1_iilS5_lS5_S4_S5_S3_S3_: ; @_ZN9rocsolver6v33100L12stein_kernelIffPfEEviPT0_lS4_lPiS4_lS5_lS5_lT1_iilS5_lS5_S4_S5_S3_S3_
; %bb.0:
	s_load_dwordx16 s[8:23], s[4:5], 0x8
	s_mov_b32 s54, s7
	s_ashr_i32 s55, s7, 31
	s_lshl_b64 s[2:3], s[54:55], 2
	s_waitcnt lgkmcnt(0)
	s_add_u32 s0, s16, s2
	s_addc_u32 s1, s17, s3
	s_load_dword s48, s[0:1], 0x0
	s_waitcnt lgkmcnt(0)
	s_cmp_lt_i32 s48, 1
	s_cbranch_scc1 .LBB8_270
; %bb.1:
	s_load_dwordx8 s[36:43], s[4:5], 0x70
	s_load_dwordx4 s[44:47], s[4:5], 0x90
                                        ; implicit-def: $vgpr52 : SGPR spill to VGPR lane
	s_mov_b64 s[28:29], 0
	v_writelane_b32 v52, s2, 0
	v_writelane_b32 v52, s3, 1
	s_waitcnt lgkmcnt(0)
	s_cmp_eq_u64 s[38:39], 0
	s_cbranch_scc1 .LBB8_3
; %bb.2:
	s_mul_i32 s0, s54, s41
	s_mul_hi_u32 s1, s54, s40
	s_add_i32 s0, s1, s0
	s_mul_i32 s1, s55, s40
	s_add_i32 s1, s0, s1
	s_mul_i32 s0, s54, s40
	s_lshl_b64 s[0:1], s[0:1], 2
	s_add_u32 s28, s38, s0
	s_addc_u32 s29, s39, s1
.LBB8_3:
	v_cmp_eq_u32_e64 s[0:1], 0, v0
	s_and_saveexec_b64 s[2:3], s[0:1]
	s_cbranch_execz .LBB8_5
; %bb.4:
	v_mov_b32_e32 v1, 0
	ds_write_b32 v1, v1
.LBB8_5:
	s_or_b64 exec, exec, s[2:3]
	s_cmp_lg_u64 s[28:29], 0
	s_cselect_b64 s[6:7], -1, 0
	v_cmp_gt_u32_e32 vcc, s48, v0
	s_and_b64 s[2:3], vcc, s[6:7]
	s_and_saveexec_b64 s[16:17], s[2:3]
	s_cbranch_execz .LBB8_13
; %bb.6:
	v_or_b32_e32 v1, 0x100, v0
	v_max_i32_e32 v2, s48, v1
	v_xad_u32 v3, v0, -1, v2
	s_movk_i32 s2, 0x2ff
	v_cmp_lt_u32_e32 vcc, s2, v3
	s_mov_b64 s[2:3], -1
	v_mov_b32_e32 v2, v0
	s_and_saveexec_b64 s[26:27], vcc
	s_cbranch_execz .LBB8_10
; %bb.7:
	v_lshrrev_b32_e32 v2, 8, v3
	v_add_u32_e32 v6, 1, v2
	v_and_b32_e32 v7, 0x1fffffc, v6
	s_mov_b64 s[24:25], 0
	v_mov_b32_e32 v8, s29
	v_mov_b32_e32 v3, 0
	;; [unrolled: 1-line block ×3, first 2 shown]
	v_pk_mov_b32 v[4:5], v[0:1], v[0:1] op_sel:[0,1]
.LBB8_8:                                ; =>This Inner Loop Header: Depth=1
	v_mov_b32_e32 v2, v4
	v_lshlrev_b64 v[14:15], 2, v[2:3]
	v_add_u32_e32 v12, 0x200, v4
	v_mov_b32_e32 v13, v3
	v_add_co_u32_e64 v14, s[2:3], s28, v14
	v_lshlrev_b64 v[12:13], 2, v[12:13]
	v_addc_co_u32_e64 v15, s[2:3], v8, v15, s[2:3]
	v_add_u32_e32 v10, 0x200, v5
	v_mov_b32_e32 v11, v3
	v_add_u32_e32 v9, -4, v9
	v_mov_b32_e32 v2, v5
	v_add_co_u32_e64 v12, s[2:3], s28, v12
	v_lshlrev_b64 v[10:11], 2, v[10:11]
	v_cmp_eq_u32_e32 vcc, 0, v9
	v_lshlrev_b64 v[16:17], 2, v[2:3]
	v_addc_co_u32_e64 v13, s[2:3], v8, v13, s[2:3]
	v_add_u32_e32 v4, 0x400, v4
	v_add_u32_e32 v5, 0x400, v5
	v_add_co_u32_e64 v10, s[2:3], s28, v10
	s_or_b64 s[24:25], vcc, s[24:25]
	v_add_co_u32_e32 v16, vcc, s28, v16
	v_addc_co_u32_e64 v11, s[2:3], v8, v11, s[2:3]
	v_addc_co_u32_e32 v17, vcc, v8, v17, vcc
	flat_store_dword v[14:15], v3
	flat_store_dword v[16:17], v3
	;; [unrolled: 1-line block ×4, first 2 shown]
	s_andn2_b64 exec, exec, s[24:25]
	s_cbranch_execnz .LBB8_8
; %bb.9:
	s_or_b64 exec, exec, s[24:25]
	v_cmp_ne_u32_e32 vcc, v6, v7
	v_lshl_or_b32 v2, v7, 8, v0
	s_orn2_b64 s[2:3], vcc, exec
.LBB8_10:
	s_or_b64 exec, exec, s[26:27]
	s_and_b64 exec, exec, s[2:3]
	s_cbranch_execz .LBB8_13
; %bb.11:
	v_mov_b32_e32 v3, 0
	v_lshlrev_b64 v[4:5], 2, v[2:3]
	v_mov_b32_e32 v1, s29
	v_add_co_u32_e32 v4, vcc, s28, v4
	v_addc_co_u32_e32 v5, vcc, v1, v5, vcc
	s_mov_b64 s[24:25], 0
.LBB8_12:                               ; =>This Inner Loop Header: Depth=1
	v_add_u32_e32 v2, 0x100, v2
	flat_store_dword v[4:5], v3
	v_add_co_u32_e32 v4, vcc, 0x400, v4
	v_cmp_le_i32_e64 s[2:3], s48, v2
	s_or_b64 s[24:25], s[2:3], s[24:25]
	v_addc_co_u32_e32 v5, vcc, 0, v5, vcc
	s_andn2_b64 exec, exec, s[24:25]
	s_cbranch_execnz .LBB8_12
.LBB8_13:
	v_writelane_b32 v52, s28, 2
	v_writelane_b32 v52, s29, 3
	;; [unrolled: 1-line block ×10, first 2 shown]
	s_or_b64 exec, exec, s[16:17]
	s_load_dwordx8 s[36:43], s[4:5], 0x48
	s_mov_b32 s27, 0
	s_mov_b32 s49, s27
	v_mov_b32_e32 v3, 0
	s_waitcnt lgkmcnt(0)
	s_mul_i32 s3, s54, s37
	s_mul_hi_u32 s16, s54, s36
	s_mul_i32 s17, s55, s36
	s_add_i32 s3, s16, s3
	s_mul_i32 s2, s54, s36
	s_add_i32 s3, s3, s17
	s_lshl_b64 s[2:3], s[2:3], 2
	s_add_u32 s33, s22, s2
	s_addc_u32 s62, s23, s3
	s_lshl_b64 s[2:3], s[48:49], 2
	s_add_u32 s2, s33, s2
	s_addc_u32 s3, s62, s3
	v_writelane_b32 v52, s2, 12
	v_writelane_b32 v52, s3, 13
	s_nop 3
	global_load_dword v14, v3, s[2:3] offset:-4
	s_waitcnt vmcnt(0)
	v_cmp_gt_i32_e32 vcc, 1, v14
	s_cbranch_vccnz .LBB8_268
; %bb.14:
	s_load_dword s28, s[4:5], 0x0
	s_mul_i32 s2, s54, s11
	s_mul_hi_u32 s3, s54, s10
	s_add_i32 s2, s3, s2
	s_mul_i32 s3, s55, s10
	s_add_i32 s3, s2, s3
	s_mul_i32 s2, s54, s10
	s_waitcnt lgkmcnt(0)
	s_ashr_i32 s29, s28, 31
	s_lshl_b64 s[2:3], s[2:3], 2
	s_add_u32 s26, s8, s2
	s_addc_u32 s30, s9, s3
	s_mul_i32 s2, s54, s15
	s_mul_hi_u32 s3, s54, s14
	s_add_i32 s2, s3, s2
	s_mul_i32 s3, s55, s14
	s_add_i32 s3, s2, s3
	s_mul_i32 s2, s54, s14
	s_lshl_b64 s[2:3], s[2:3], 2
	s_add_u32 s31, s12, s2
	s_addc_u32 s34, s13, s3
	s_mul_i32 s2, s54, s21
	s_mul_hi_u32 s3, s54, s20
	s_add_i32 s2, s3, s2
	s_mul_i32 s3, s55, s20
	s_add_i32 s3, s2, s3
	s_mul_i32 s2, s54, s20
	;; [unrolled: 9-line block ×3, first 2 shown]
	s_load_dwordx2 s[36:37], s[4:5], 0x68
	s_load_dwordx2 s[52:53], s[4:5], 0xa0
	s_mul_i32 s4, s28, 5
	s_lshl_b64 s[2:3], s[2:3], 2
	s_add_u32 s35, s38, s2
	s_mul_hi_i32 s5, s4, s54
	s_mul_i32 s4, s4, s54
	s_addc_u32 s22, s39, s3
	s_lshl_b64 s[10:11], s[4:5], 2
	s_add_u32 s20, s44, s10
	s_mul_hi_i32 s3, s28, s54
	s_mul_i32 s2, s28, s54
	v_readlane_b32 s12, v52, 4
	s_addc_u32 s21, s45, s11
	s_lshl_b64 s[2:3], s[2:3], 2
	v_readlane_b32 s13, v52, 5
	s_add_u32 s60, s46, s2
	s_mul_i32 s8, s54, s13
	s_mul_hi_u32 s9, s54, s12
	s_addc_u32 s61, s47, s3
	s_add_i32 s8, s9, s8
	s_mul_i32 s9, s55, s12
	s_add_i32 s9, s8, s9
	s_mul_i32 s8, s54, s12
	s_waitcnt lgkmcnt(0)
	s_ashr_i32 s3, s36, 31
	s_lshl_b64 s[8:9], s[8:9], 2
	s_mov_b32 s2, s36
	s_add_u32 s8, s42, s8
	v_readlane_b32 s18, v52, 10
	s_addc_u32 s9, s43, s9
	s_lshl_b64 s[2:3], s[2:3], 2
	v_readlane_b32 s19, v52, 11
	s_add_u32 s36, s8, s2
	s_mul_i32 s18, s28, 3
	s_addc_u32 s49, s9, s3
	s_ashr_i32 s19, s18, 31
	s_lshl_b64 s[12:13], s[18:19], 2
	s_add_u32 s38, s20, s12
	s_addc_u32 s39, s21, s13
	s_lshl_b64 s[8:9], s[28:29], 3
	s_sub_u32 s40, s38, s8
	s_subb_u32 s41, s39, s9
	s_lshl_b64 s[2:3], s[28:29], 2
	s_add_u32 s42, s40, s2
	s_addc_u32 s43, s41, s3
	v_readlane_b32 s14, v52, 6
	s_add_u32 s46, s42, s8
	s_addc_u32 s47, s43, s9
	v_lshlrev_b32_e32 v2, 2, v0
	s_add_i32 s14, 8, 0x800
	v_readlane_b32 s15, v52, 7
	v_readlane_b32 s16, v52, 8
	;; [unrolled: 1-line block ×3, first 2 shown]
	v_max_f32_e64 v1, s52, s52
	v_add_u32_e32 v32, s14, v2
	s_mul_i32 s14, s28, -12
	v_max_f32_e32 v30, 0, v1
	s_mul_hi_i32 s16, s28, -12
	s_add_u32 s17, s46, s14
	v_div_scale_f32 v1, s[14:15], s53, s53, 1.0
	s_addc_u32 s14, s47, s16
	s_add_u32 s54, s17, 4
	s_addc_u32 s55, s14, 0
	s_and_b64 s[6:7], s[0:1], s[6:7]
	v_writelane_b32 v52, s6, 14
	v_writelane_b32 v52, s7, 15
	s_add_u32 s6, s35, -4
	v_writelane_b32 v52, s6, 16
	s_addc_u32 s6, s22, -1
	s_add_u32 s51, s26, -4
	v_writelane_b32 v52, s22, 17
	s_addc_u32 s73, s30, -1
	v_writelane_b32 v52, s6, 18
	s_add_u32 s6, s31, -8
	v_writelane_b32 v52, s6, 19
	s_addc_u32 s6, s34, -1
	v_writelane_b32 v52, s6, 20
	;; [unrolled: 4-line block ×3, first 2 shown]
	s_add_u32 s6, s31, 4
	v_rcp_f32_e32 v4, v1
	v_writelane_b32 v52, s6, 23
	s_addc_u32 s6, s34, 0
	v_writelane_b32 v52, s6, 24
	s_add_u32 s6, s26, 4
	v_writelane_b32 v52, s6, 25
	s_addc_u32 s6, s30, 0
	v_writelane_b32 v52, s6, 26
	s_add_u32 s6, s10, s12
	v_fma_f32 v5, -v1, v4, 1.0
	s_addc_u32 s7, s11, s13
	v_fmac_f32_e32 v4, v5, v4
	v_div_scale_f32 v5, vcc, 1.0, s53, 1.0
	s_add_u32 s6, s6, s44
	v_mul_f32_e32 v6, v5, v4
	s_addc_u32 s7, s7, s45
	s_lshl_b32 s63, s28, 1
	v_fma_f32 v7, -v1, v6, v5
	s_add_u32 s58, s6, 8
	v_fmac_f32_e32 v6, v7, v4
	s_addc_u32 s59, s7, 0
	v_fma_f32 v1, -v1, v6, v5
	s_add_u32 s4, s4, s18
	v_div_fmas_f32 v1, v1, v4, v6
	v_mov_b32_e32 v9, s21
	v_add_co_u32_e32 v8, vcc, s20, v2
	v_writelane_b32 v52, s18, 27
	s_addc_u32 s5, s5, s19
	v_addc_co_u32_e32 v9, vcc, 0, v9, vcc
	v_add_u32_e32 v12, s28, v0
	v_writelane_b32 v52, s19, 28
	s_lshl_b64 s[4:5], s[4:5], 2
	v_mov_b32_e32 v11, s7
	v_add_co_u32_e32 v10, vcc, s6, v2
	v_ashrrev_i32_e32 v13, 31, v12
	s_sub_u32 s4, s4, s8
	v_writelane_b32 v52, s26, 29
	v_addc_co_u32_e32 v11, vcc, 0, v11, vcc
	v_lshlrev_b64 v[12:13], 2, v[12:13]
	s_subb_u32 s5, s5, s9
	v_writelane_b32 v52, s30, 30
	v_add_u32_e32 v31, 8, v2
	v_pk_mov_b32 v[6:7], v[2:3], v[2:3] op_sel:[0,1]
	v_mov_b32_e32 v2, s21
	v_add_co_u32_e32 v12, vcc, s20, v12
	s_add_u32 s4, s4, s44
	v_writelane_b32 v52, s31, 31
	v_addc_co_u32_e32 v2, vcc, v2, v13, vcc
	s_addc_u32 s5, s5, s45
	v_writelane_b32 v52, s34, 32
	s_movk_i32 s2, 0x80
	v_div_fixup_f32 v4, v1, s53, 1.0
	v_add_co_u32_e32 v12, vcc, 4, v12
	s_add_u32 s44, s4, 8
	s_mov_b32 s64, 0xff800000
	v_writelane_b32 v52, s35, 33
	v_cmp_gt_u32_e64 s[2:3], s2, v0
	v_not_b32_e32 v33, v0
	v_or_b32_e32 v1, 0x100, v0
	v_mov_b32_e32 v5, v4
	v_addc_co_u32_e32 v13, vcc, 0, v2, vcc
	s_addc_u32 s45, s5, 0
	s_brev_b32 s23, -2
	v_mov_b32_e32 v34, 0x260
	v_mov_b32_e32 v35, 1.0
	s_mov_b32 s76, 0x5e4789c9
	s_mov_b32 s77, 0xbc8f
	s_movk_i32 s82, 0xf2b9
	s_mov_b32 s83, 0x4f7a09cd
	s_mov_b32 s56, 0x9ef4
	v_mov_b32_e32 v36, 1
	v_mov_b32_e32 v37, 8
	s_movk_i32 s57, 0xf131
	s_movk_i32 s22, 0x400
	s_mov_b32 s50, 0
	v_cmp_gt_u32_e64 s[4:5], 64, v0
	v_cmp_gt_i32_e64 s[6:7], s28, v0
	s_mov_b32 s65, 0x41dfffff
	s_mov_b32 s66, s27
	v_writelane_b32 v52, s51, 34
                                        ; implicit-def: $vgpr38
                                        ; implicit-def: $vgpr42
                                        ; implicit-def: $vgpr41
                                        ; implicit-def: $vgpr39
                                        ; implicit-def: $sgpr29
	v_writelane_b32 v52, s73, 35
	s_branch .LBB8_17
.LBB8_15:                               ;   in Loop: Header=BB8_17 Depth=1
	v_readlane_b32 s8, v52, 12
	v_readlane_b32 s9, v52, 13
	s_mov_b32 s50, s18
	v_readlane_b32 s26, v52, 29
	v_readlane_b32 s30, v52, 30
	;; [unrolled: 1-line block ×4, first 2 shown]
	global_load_dword v14, v3, s[8:9] offset:-4
	v_readlane_b32 s35, v52, 33
	v_readlane_b32 s51, v52, 34
	;; [unrolled: 1-line block ×3, first 2 shown]
.LBB8_16:                               ;   in Loop: Header=BB8_17 Depth=1
	s_add_i32 s66, s66, 1
	s_waitcnt vmcnt(0)
	v_cmp_ge_i32_e32 vcc, s66, v14
	s_cbranch_vccnz .LBB8_268
.LBB8_17:                               ; =>This Loop Header: Depth=1
                                        ;     Child Loop BB8_23 Depth 2
                                        ;     Child Loop BB8_28 Depth 2
                                        ;       Child Loop BB8_39 Depth 3
                                        ;       Child Loop BB8_42 Depth 3
	;; [unrolled: 1-line block ×5, first 2 shown]
                                        ;         Child Loop BB8_112 Depth 4
                                        ;         Child Loop BB8_118 Depth 4
	;; [unrolled: 1-line block ×5, first 2 shown]
                                        ;           Child Loop BB8_138 Depth 5
                                        ;         Child Loop BB8_156 Depth 4
                                        ;           Child Loop BB8_157 Depth 5
                                        ;           Child Loop BB8_159 Depth 5
                                        ;         Child Loop BB8_164 Depth 4
                                        ;       Child Loop BB8_205 Depth 3
                                        ;       Child Loop BB8_242 Depth 3
	;; [unrolled: 1-line block ×5, first 2 shown]
	s_cmp_eq_u32 s66, 0
	s_mov_b32 s68, 0
	s_cbranch_scc1 .LBB8_19
; %bb.18:                               ;   in Loop: Header=BB8_17 Depth=1
	s_mov_b32 s67, s27
	s_lshl_b64 s[8:9], s[66:67], 2
	v_readlane_b32 s10, v52, 16
	s_add_u32 s8, s10, s8
	v_readlane_b32 s10, v52, 18
	s_addc_u32 s9, s10, s9
	global_load_dword v2, v3, s[8:9]
	s_mov_b64 s[8:9], s[66:67]
	s_waitcnt vmcnt(0)
	v_readfirstlane_b32 s68, v2
	s_branch .LBB8_20
.LBB8_19:                               ;   in Loop: Header=BB8_17 Depth=1
	s_mov_b64 s[8:9], 0
.LBB8_20:                               ;   in Loop: Header=BB8_17 Depth=1
	s_lshl_b64 s[8:9], s[8:9], 2
	s_add_u32 s8, s35, s8
	v_readlane_b32 s10, v52, 17
	s_addc_u32 s9, s10, s9
	global_load_dword v2, v3, s[8:9]
	s_not_b32 s8, s68
	s_waitcnt vmcnt(0)
	v_readfirstlane_b32 s70, v2
	s_add_i32 s72, s8, s70
	s_cmp_lt_i32 s72, 1
	s_cselect_b64 s[74:75], -1, 0
	v_subrev_u32_e32 v40, s68, v2
	s_and_b64 vcc, exec, s[74:75]
	s_cbranch_vccnz .LBB8_25
; %bb.21:                               ;   in Loop: Header=BB8_17 Depth=1
	s_ashr_i32 s69, s68, 31
	s_lshl_b64 s[8:9], s[68:69], 2
	s_add_u32 s10, s26, s8
	s_addc_u32 s11, s30, s9
	s_add_u32 s14, s31, s8
	s_addc_u32 s15, s34, s9
	s_ashr_i32 s71, s70, 31
	s_lshl_b64 s[16:17], s[70:71], 2
	s_add_u32 s18, s51, s16
	s_addc_u32 s19, s73, s17
	s_add_i32 s12, s70, -2
	v_readlane_b32 s13, v52, 19
	s_add_u32 s16, s13, s16
	v_readlane_b32 s13, v52, 20
	s_addc_u32 s17, s13, s17
	global_load_dword v15, v3, s[10:11]
	global_load_dword v2, v3, s[14:15]
	;; [unrolled: 1-line block ×4, first 2 shown]
	s_cmp_ge_i32 s68, s12
	s_waitcnt vmcnt(3)
	v_and_b32_e32 v16, 0x7fffffff, v15
	s_waitcnt vmcnt(2)
	v_and_b32_e32 v18, 0x7fffffff, v2
	;; [unrolled: 2-line block ×4, first 2 shown]
	v_pk_add_f32 v[16:17], v[16:17], v[18:19]
	v_cmp_lt_f32_e32 vcc, v16, v17
	v_cndmask_b32_e32 v39, v16, v17, vcc
	s_cbranch_scc1 .LBB8_24
; %bb.22:                               ;   in Loop: Header=BB8_17 Depth=1
	v_readlane_b32 s10, v52, 23
	s_add_u32 s10, s10, s8
	v_readlane_b32 s11, v52, 24
	s_addc_u32 s11, s11, s9
	v_readlane_b32 s13, v52, 25
	s_add_u32 s8, s13, s8
	v_readlane_b32 s13, v52, 26
	s_addc_u32 s9, s13, s9
	s_mov_b32 s13, s68
.LBB8_23:                               ;   Parent Loop BB8_17 Depth=1
                                        ; =>  This Inner Loop Header: Depth=2
	global_load_dword v15, v3, s[8:9]
	s_add_i32 s13, s13, 1
	s_waitcnt vmcnt(0)
	v_add_f32_e64 v15, |v2|, |v15|
	global_load_dword v2, v3, s[10:11]
	s_add_u32 s10, s10, 4
	s_addc_u32 s11, s11, 0
	s_add_u32 s8, s8, 4
	s_addc_u32 s9, s9, 0
	s_cmp_lt_i32 s13, s12
	s_waitcnt vmcnt(0)
	v_add_f32_e64 v15, v15, |v2|
	v_cmp_lt_f32_e32 vcc, v39, v15
	v_cndmask_b32_e32 v39, v39, v15, vcc
	s_cbranch_scc1 .LBB8_23
.LBB8_24:                               ;   in Loop: Header=BB8_17 Depth=1
	s_mov_b32 s10, 0x9999999a
	v_cvt_f64_u32_e32 v[16:17], v40
	s_mov_b32 s11, 0x3fb99999
	v_div_scale_f64 v[18:19], s[8:9], v[16:17], v[16:17], s[10:11]
	v_rcp_f64_e32 v[20:21], v[18:19]
	v_div_scale_f64 v[22:23], vcc, s[10:11], v[16:17], s[10:11]
	s_mov_b32 s8, 0
	v_fma_f64 v[24:25], -v[18:19], v[20:21], 1.0
	v_fmac_f64_e32 v[20:21], v[20:21], v[24:25]
	v_fma_f64 v[24:25], -v[18:19], v[20:21], 1.0
	v_fmac_f64_e32 v[20:21], v[20:21], v[24:25]
	v_mul_f64 v[24:25], v[22:23], v[20:21]
	v_fma_f64 v[18:19], -v[18:19], v[24:25], v[22:23]
	v_div_fmas_f64 v[18:19], v[18:19], v[20:21], v[24:25]
	v_div_fixup_f64 v[16:17], v[18:19], v[16:17], s[10:11]
	s_brev_b32 s9, 8
	v_cmp_gt_f64_e32 vcc, s[8:9], v[16:17]
	v_cndmask_b32_e64 v2, 0, 1, vcc
	v_lshlrev_b32_e32 v2, 8, v2
	v_ldexp_f64 v[16:17], v[16:17], v2
	v_rsq_f64_e32 v[18:19], v[16:17]
	s_and_b64 s[8:9], vcc, exec
	s_cselect_b32 s8, 0xffffff80, 0
	v_cmp_class_f64_e32 vcc, v[16:17], v34
	v_mul_f64 v[20:21], v[16:17], v[18:19]
	v_mul_f64 v[18:19], v[18:19], 0.5
	v_fma_f64 v[22:23], -v[18:19], v[20:21], 0.5
	v_fmac_f64_e32 v[20:21], v[20:21], v[22:23]
	v_fma_f64 v[24:25], -v[20:21], v[20:21], v[16:17]
	v_fmac_f64_e32 v[18:19], v[18:19], v[22:23]
	v_fmac_f64_e32 v[20:21], v[24:25], v[18:19]
	v_fma_f64 v[22:23], -v[20:21], v[20:21], v[16:17]
	v_fmac_f64_e32 v[20:21], v[22:23], v[18:19]
	v_ldexp_f64 v[18:19], v[20:21], s8
	v_cndmask_b32_e32 v17, v19, v17, vcc
	v_cndmask_b32_e32 v16, v18, v16, vcc
	v_mul_f32_e32 v41, 0x3a83126f, v39
	v_cvt_f32_f64_e32 v42, v[16:17]
	s_mov_b32 s29, s50
.LBB8_25:                               ;   in Loop: Header=BB8_17 Depth=1
	s_cmp_ge_i32 s50, s48
	s_cbranch_scc1 .LBB8_16
; %bb.26:                               ;   in Loop: Header=BB8_17 Depth=1
	s_ashr_i32 s71, s70, 31
	s_lshl_b64 s[12:13], s[70:71], 2
	s_add_u32 s12, s51, s12
	s_addc_u32 s13, s73, s13
	v_writelane_b32 v52, s12, 36
	v_writelane_b32 v52, s13, 37
	v_readlane_b32 s12, v52, 27
	v_readlane_b32 s13, v52, 28
	s_add_i32 s12, s72, s12
	s_ashr_i32 s13, s12, 31
	s_lshl_b64 s[12:13], s[12:13], 2
	s_add_u32 s78, s20, s12
	s_mov_b32 s73, s27
	s_addc_u32 s79, s21, s13
	s_lshl_b64 s[12:13], s[72:73], 2
	s_add_u32 s80, s60, s12
	v_cvt_f32_u32_e32 v2, v40
	s_addc_u32 s81, s61, s13
	s_add_i32 s67, s72, -1
	s_add_u32 s12, s38, s12
	s_addc_u32 s13, s39, s13
	v_add_u32_e32 v16, s68, v0
	v_writelane_b32 v52, s12, 38
	v_mul_f32_e32 v43, v39, v2
	v_add_u32_e32 v2, s70, v33
	v_ashrrev_i32_e32 v17, 31, v16
	v_writelane_b32 v52, s13, 39
	v_subrev_u32_e32 v2, s68, v2
	s_movk_i32 s12, 0xff
	v_lshlrev_b64 v[18:19], 2, v[16:17]
	v_lshrrev_b32_e32 v14, 8, v2
	v_cmp_lt_u32_e64 s[12:13], s12, v2
	v_mov_b32_e32 v2, s30
	v_add_co_u32_e32 v16, vcc, s26, v18
	s_cmp_lg_u32 s72, 1
	v_addc_co_u32_e32 v17, vcc, v2, v19, vcc
	s_cselect_b64 s[84:85], -1, 0
	v_mov_b32_e32 v2, s34
	v_add_co_u32_e32 v18, vcc, s31, v18
	s_ashr_i32 s69, s68, 31
	v_add_u32_e32 v15, 1, v14
	v_addc_co_u32_e32 v19, vcc, v2, v19, vcc
	s_lshl_b64 s[16:17], s[68:69], 2
	v_and_b32_e32 v44, 0x1fffffe, v15
	v_mov_b32_e32 v2, s17
	v_subrev_co_u32_e32 v20, vcc, s16, v8
	v_cmp_ge_i32_e64 s[8:9], s72, v0
	v_cmp_gt_i32_e64 s[10:11], s72, v0
	v_lshl_or_b32 v14, v44, 8, v0
	v_cmp_ne_u32_e64 s[14:15], v15, v44
	s_sub_i32 s71, s70, s68
	v_subb_co_u32_e32 v21, vcc, v9, v2, vcc
	s_mul_i32 s69, s37, s50
	s_mov_b32 s73, 0
	v_mov_b32_e32 v2, v38
	s_mov_b32 s86, s50
	s_branch .LBB8_28
.LBB8_27:                               ;   in Loop: Header=BB8_28 Depth=2
	s_or_b64 exec, exec, s[18:19]
	s_add_i32 s73, s73, 1
	s_add_i32 s86, s86, 1
	;; [unrolled: 1-line block ×3, first 2 shown]
	s_cmp_ge_i32 s86, s48
	s_cselect_b64 s[16:17], -1, 0
	s_mov_b32 s18, s50
	s_waitcnt vmcnt(0)
	v_mov_b32_e32 v2, v38
	s_barrier
	s_and_b64 vcc, exec, s[16:17]
	s_cbranch_vccnz .LBB8_15
.LBB8_28:                               ;   Parent Loop BB8_17 Depth=1
                                        ; =>  This Loop Header: Depth=2
                                        ;       Child Loop BB8_39 Depth 3
                                        ;       Child Loop BB8_42 Depth 3
	;; [unrolled: 1-line block ×5, first 2 shown]
                                        ;         Child Loop BB8_112 Depth 4
                                        ;         Child Loop BB8_118 Depth 4
	;; [unrolled: 1-line block ×5, first 2 shown]
                                        ;           Child Loop BB8_138 Depth 5
                                        ;         Child Loop BB8_156 Depth 4
                                        ;           Child Loop BB8_157 Depth 5
                                        ;           Child Loop BB8_159 Depth 5
                                        ;         Child Loop BB8_164 Depth 4
                                        ;       Child Loop BB8_205 Depth 3
                                        ;       Child Loop BB8_242 Depth 3
	;; [unrolled: 1-line block ×5, first 2 shown]
	s_ashr_i32 s87, s86, 31
	s_lshl_b64 s[16:17], s[86:87], 2
	s_add_u32 s18, s33, s16
	s_addc_u32 s19, s62, s17
	global_load_dword v15, v3, s[18:19]
	s_waitcnt vmcnt(0)
	v_add_u32_e32 v15, -1, v15
	v_cmp_ne_u32_e32 vcc, s66, v15
	s_cbranch_vccnz .LBB8_33
; %bb.29:                               ;   in Loop: Header=BB8_28 Depth=2
	s_add_u32 s16, s24, s16
	s_addc_u32 s17, s25, s17
	global_load_dword v38, v3, s[16:17]
	s_and_b64 vcc, exec, s[74:75]
	s_cbranch_vccz .LBB8_34
; %bb.30:                               ;   in Loop: Header=BB8_28 Depth=2
	s_and_saveexec_b64 s[16:17], s[0:1]
	s_cbranch_execz .LBB8_32
; %bb.31:                               ;   in Loop: Header=BB8_28 Depth=2
	global_store_dword v3, v35, s[20:21]
.LBB8_32:                               ;   in Loop: Header=BB8_28 Depth=2
	s_or_b64 exec, exec, s[16:17]
	s_barrier
	s_branch .LBB8_263
.LBB8_33:                               ;   in Loop: Header=BB8_28 Depth=2
                                        ; implicit-def: $sgpr73
                                        ; implicit-def: $sgpr69
	s_mov_b32 s18, s86
	v_mov_b32_e32 v38, v2
	s_cbranch_execz .LBB8_28
	s_branch .LBB8_15
.LBB8_34:                               ;   in Loop: Header=BB8_28 Depth=2
	s_cbranch_execz .LBB8_263
; %bb.35:                               ;   in Loop: Header=BB8_28 Depth=2
	s_mul_i32 s16, s66, s48
	s_add_i32 s16, s86, s16
	v_lshl_or_b32 v22, s16, 8, v0
	v_add_u32_e32 v15, 1, v22
	s_mov_b32 s16, 0x40000001
	v_mul_hi_i32 v23, v15, s16
	v_lshrrev_b32_e32 v24, 31, v23
	v_ashrrev_i32_e32 v23, 29, v23
	v_add_u32_e32 v23, v23, v24
	v_mul_lo_u32 v23, v23, s23
	v_sub_u32_e32 v15, v15, v23
	v_max_i32_e32 v15, 1, v15
	s_mov_b32 s16, 0x7ffffffe
	v_cmp_ne_u32_e32 vcc, s16, v22
	v_mov_b32_e32 v24, v15
	s_and_saveexec_b64 s[16:17], vcc
; %bb.36:                               ;   in Loop: Header=BB8_28 Depth=2
	v_sub_u32_e32 v22, 0x7ffffffe, v22
	s_mov_b32 s18, 0x4000007d
	v_mul_hi_i32 v23, v22, s18
	v_lshrrev_b32_e32 v24, 31, v23
	v_ashrrev_i32_e32 v23, 29, v23
	v_add_u32_e32 v23, v23, v24
	s_mov_b32 s18, 0x7fffff07
	v_mul_lo_u32 v23, v23, s18
	v_sub_u32_e32 v22, v22, v23
	v_max_i32_e32 v24, 1, v22
; %bb.37:                               ;   in Loop: Header=BB8_28 Depth=2
	s_or_b64 exec, exec, s[16:17]
	s_and_saveexec_b64 s[16:17], s[8:9]
	s_cbranch_execz .LBB8_40
; %bb.38:                               ;   in Loop: Header=BB8_28 Depth=2
	s_mov_b64 s[18:19], 0
	v_pk_mov_b32 v[22:23], v[8:9], v[8:9] op_sel:[0,1]
	v_mov_b32_e32 v25, v0
.LBB8_39:                               ;   Parent Loop BB8_17 Depth=1
                                        ;     Parent Loop BB8_28 Depth=2
                                        ; =>    This Inner Loop Header: Depth=3
	v_mul_hi_i32 v26, v15, s76
	v_mul_hi_i32 v27, v24, s83
	v_lshrrev_b32_e32 v28, 31, v26
	v_ashrrev_i32_e32 v26, 14, v26
	v_lshrrev_b32_e32 v29, 31, v27
	v_ashrrev_i32_e32 v27, 14, v27
	v_add_u32_e32 v26, v26, v28
	v_add_u32_e32 v27, v27, v29
	v_mul_i32_i24_e32 v28, 0xadc8, v26
	v_mul_i32_i24_e32 v29, 0xce26, v27
	v_sub_u32_e32 v15, v15, v28
	v_sub_u32_e32 v24, v24, v29
	v_mul_lo_u32 v15, v15, s77
	v_mul_lo_u32 v24, v24, s56
	v_mad_i32_i24 v15, v26, s82, v15
	v_mad_i32_i24 v24, v27, s57, v24
	v_ashrrev_i32_e32 v26, 31, v15
	v_ashrrev_i32_e32 v27, 31, v24
	v_and_b32_e32 v26, 0x7fffffff, v26
	v_and_b32_e32 v27, 0x7fffff07, v27
	v_add_u32_e32 v15, v26, v15
	v_add_u32_e32 v24, v27, v24
	v_sub_u32_e32 v26, v15, v24
	v_ashrrev_i32_e32 v27, 31, v26
	v_and_b32_e32 v27, 0x7fffffff, v27
	v_add_u32_e32 v26, v27, v26
	v_cvt_f64_i32_e32 v[26:27], v26
	v_div_scale_f64 v[28:29], s[30:31], s[64:65], s[64:65], v[26:27]
	v_rcp_f64_e32 v[48:49], v[28:29]
	v_add_u32_e32 v25, 0x100, v25
	v_cmp_lt_i32_e32 vcc, s72, v25
	s_or_b64 s[18:19], vcc, s[18:19]
	v_fma_f64 v[50:51], -v[28:29], v[48:49], 1.0
	v_fmac_f64_e32 v[48:49], v[48:49], v[50:51]
	v_fma_f64 v[50:51], -v[28:29], v[48:49], 1.0
	v_div_scale_f64 v[46:47], vcc, v[26:27], s[64:65], v[26:27]
	v_fmac_f64_e32 v[48:49], v[48:49], v[50:51]
	v_mul_f64 v[50:51], v[46:47], v[48:49]
	v_fma_f64 v[28:29], -v[28:29], v[50:51], v[46:47]
	s_nop 0
	v_div_fmas_f64 v[28:29], v[28:29], v[48:49], v[50:51]
	v_div_fixup_f64 v[26:27], v[28:29], s[64:65], v[26:27]
	v_cvt_f32_f64_e32 v26, v[26:27]
	global_store_dword v[22:23], v26, off
	v_add_co_u32_e32 v22, vcc, 0x400, v22
	v_addc_co_u32_e32 v23, vcc, 0, v23, vcc
	s_andn2_b64 exec, exec, s[18:19]
	s_cbranch_execnz .LBB8_39
.LBB8_40:                               ;   in Loop: Header=BB8_28 Depth=2
	s_or_b64 exec, exec, s[16:17]
	s_and_saveexec_b64 s[88:89], s[10:11]
	s_cbranch_execz .LBB8_43
; %bb.41:                               ;   in Loop: Header=BB8_28 Depth=2
	s_mov_b64 s[90:91], 0
	v_pk_mov_b32 v[22:23], v[18:19], v[18:19] op_sel:[0,1]
	v_pk_mov_b32 v[24:25], v[16:17], v[16:17] op_sel:[0,1]
	;; [unrolled: 1-line block ×4, first 2 shown]
	v_mov_b32_e32 v15, v0
.LBB8_42:                               ;   Parent Loop BB8_17 Depth=1
                                        ;     Parent Loop BB8_28 Depth=2
                                        ; =>    This Inner Loop Header: Depth=3
	global_load_dword v45, v[24:25], off
	v_add_u32_e32 v46, s63, v15
	v_add_u32_e32 v15, 0x100, v15
	v_ashrrev_i32_e32 v47, 31, v46
	v_cmp_le_i32_e32 vcc, s72, v15
	v_lshlrev_b64 v[46:47], 2, v[46:47]
	v_mov_b32_e32 v48, s21
	s_or_b64 s[90:91], vcc, s[90:91]
	v_add_co_u32_e32 v46, vcc, s20, v46
	v_addc_co_u32_e32 v47, vcc, v48, v47, vcc
	s_waitcnt vmcnt(0)
	global_store_dword v[28:29], v45, off
	global_load_dword v45, v[22:23], off
	v_add_co_u32_e32 v28, vcc, s22, v28
	v_addc_co_u32_e32 v29, vcc, 0, v29, vcc
	s_waitcnt vmcnt(0)
	global_store_dword v[46:47], v45, off
	global_store_dword v[26:27], v45, off
	v_add_co_u32_e32 v26, vcc, s22, v26
	s_mov_b64 s[16:17], vcc
	v_add_co_u32_e32 v24, vcc, 0x400, v24
	s_mov_b64 s[18:19], vcc
	v_addc_co_u32_e64 v27, vcc, 0, v27, s[16:17]
	v_add_co_u32_e32 v22, vcc, 0x400, v22
	v_addc_co_u32_e64 v25, s[16:17], 0, v25, s[18:19]
	v_addc_co_u32_e32 v23, vcc, 0, v23, vcc
	s_andn2_b64 exec, exec, s[90:91]
	s_cbranch_execnz .LBB8_42
.LBB8_43:                               ;   in Loop: Header=BB8_28 Depth=2
	s_or_b64 exec, exec, s[88:89]
	s_and_saveexec_b64 s[16:17], s[0:1]
	s_cbranch_execz .LBB8_45
; %bb.44:                               ;   in Loop: Header=BB8_28 Depth=2
	v_readlane_b32 s18, v52, 36
	v_readlane_b32 s19, v52, 37
	s_nop 4
	global_load_dword v15, v3, s[18:19]
	s_waitcnt vmcnt(0)
	global_store_dword v3, v15, s[78:79]
.LBB8_45:                               ;   in Loop: Header=BB8_28 Depth=2
	s_or_b64 exec, exec, s[16:17]
	s_waitcnt vmcnt(0)
	v_mul_f32_e32 v15, s52, v38
	s_mov_b32 s16, 0x41200000
	v_mul_f32_e64 v22, |v15|, s16
	v_sub_f32_e32 v23, v38, v2
	s_cmp_eq_u32 s73, 0
	v_fma_f32 v15, |v15|, s16, v2
	v_cmp_lt_f32_e32 vcc, v23, v22
	v_cndmask_b32_e32 v15, v38, v15, vcc
	s_cselect_b64 vcc, -1, 0
	s_cmp_lg_u32 s73, 0
	s_cselect_b64 s[88:89], -1, 0
	v_cndmask_b32_e32 v38, v15, v38, vcc
	s_barrier
	s_and_saveexec_b64 s[16:17], s[0:1]
	s_cbranch_execz .LBB8_72
; %bb.46:                               ;   in Loop: Header=BB8_28 Depth=2
	global_load_dword v15, v3, s[38:39]
	s_mov_b64 s[18:19], 0
	s_mov_b32 s26, 1
	global_store_dword v3, v3, s[80:81]
	s_waitcnt vmcnt(1)
	v_sub_f32_e32 v15, v15, v38
	global_store_dword v3, v15, s[38:39]
	global_load_dword v22, v3, s[40:41] offset:4
	s_waitcnt vmcnt(0)
	v_add_f32_e64 v15, |v15|, |v22|
	s_branch .LBB8_48
.LBB8_47:                               ;   in Loop: Header=BB8_48 Depth=3
	s_add_u32 s18, s18, 4
	s_addc_u32 s19, s19, 0
	s_add_i32 s26, s26, 1
	s_cmp_eq_u32 s71, s26
	s_cbranch_scc1 .LBB8_69
.LBB8_48:                               ;   Parent Loop BB8_17 Depth=1
                                        ;     Parent Loop BB8_28 Depth=2
                                        ; =>    This Inner Loop Header: Depth=3
	s_add_i32 s30, s26, -1
	s_add_u32 s94, s38, s18
	s_addc_u32 s95, s39, s19
	global_load_dword v22, v3, s[94:95] offset:4
	s_add_u32 s92, s42, s18
	s_addc_u32 s93, s43, s19
	s_cmp_lt_i32 s30, s67
	s_cselect_b64 s[90:91], -1, 0
	s_cmp_ge_i32 s30, s67
	s_waitcnt vmcnt(0)
	v_sub_f32_e32 v24, v22, v38
	global_store_dword v3, v24, s[94:95] offset:4
	global_load_dword v25, v3, s[92:93]
	s_waitcnt vmcnt(0)
	v_add_f32_e64 v22, |v24|, |v25|
	s_cbranch_scc1 .LBB8_50
; %bb.49:                               ;   in Loop: Header=BB8_48 Depth=3
	s_add_u32 s30, s40, s18
	s_addc_u32 s31, s41, s19
	global_load_dword v23, v3, s[30:31] offset:8
	s_waitcnt vmcnt(0)
	v_add_f32_e64 v22, v22, |v23|
.LBB8_50:                               ;   in Loop: Header=BB8_48 Depth=3
	global_load_dword v27, v3, s[94:95]
	v_mov_b32_e32 v23, 0
	s_waitcnt vmcnt(0)
	v_cmp_eq_f32_e32 vcc, 0, v27
	s_cbranch_vccnz .LBB8_52
; %bb.51:                               ;   in Loop: Header=BB8_48 Depth=3
	v_and_b32_e32 v23, 0x7fffffff, v27
	v_div_scale_f32 v26, s[30:31], v15, v15, v23
	v_rcp_f32_e32 v28, v26
	v_div_scale_f32 v23, vcc, v23, v15, v23
	v_fma_f32 v29, -v26, v28, 1.0
	v_fmac_f32_e32 v28, v29, v28
	v_mul_f32_e32 v29, v23, v28
	v_fma_f32 v45, -v26, v29, v23
	v_fmac_f32_e32 v29, v45, v28
	v_fma_f32 v23, -v26, v29, v23
	v_div_fmas_f32 v23, v23, v28, v29
	v_div_fixup_f32 v23, v23, v15, |v27|
.LBB8_52:                               ;   in Loop: Header=BB8_48 Depth=3
	v_cmp_neq_f32_e32 vcc, 0, v25
	s_cbranch_vccz .LBB8_57
; %bb.53:                               ;   in Loop: Header=BB8_48 Depth=3
	v_and_b32_e32 v26, 0x7fffffff, v25
	v_div_scale_f32 v28, s[30:31], v22, v22, v26
	v_rcp_f32_e32 v29, v28
	v_div_scale_f32 v26, vcc, v26, v22, v26
	s_add_u32 s30, s60, s18
	v_fma_f32 v45, -v28, v29, 1.0
	v_fmac_f32_e32 v29, v45, v29
	v_mul_f32_e32 v45, v26, v29
	v_fma_f32 v46, -v28, v45, v26
	v_fmac_f32_e32 v45, v46, v29
	v_fma_f32 v26, -v28, v45, v26
	v_div_fmas_f32 v26, v26, v29, v45
	v_div_fixup_f32 v26, v26, v22, |v25|
	v_cmp_nle_f32_e32 vcc, v26, v23
	s_addc_u32 s31, s61, s19
	s_cbranch_vccnz .LBB8_58
; %bb.54:                               ;   in Loop: Header=BB8_48 Depth=3
	v_div_scale_f32 v28, s[34:35], v27, v27, v25
	v_rcp_f32_e32 v29, v28
	v_div_scale_f32 v45, vcc, v25, v27, v25
	s_add_u32 s34, s40, s18
	v_fma_f32 v46, -v28, v29, 1.0
	v_fmac_f32_e32 v29, v46, v29
	v_mul_f32_e32 v46, v45, v29
	v_fma_f32 v47, -v28, v46, v45
	v_fmac_f32_e32 v46, v47, v29
	v_fma_f32 v28, -v28, v46, v45
	v_div_fmas_f32 v28, v28, v29, v46
	v_div_fixup_f32 v28, v28, v27, v25
	global_store_dword v3, v28, s[92:93]
	s_addc_u32 s35, s41, s19
	global_load_dword v29, v3, s[94:95] offset:4
	global_load_dword v45, v3, s[34:35] offset:4
	s_andn2_b64 vcc, exec, s[90:91]
	global_store_dword v3, v3, s[30:31]
	s_waitcnt vmcnt(1)
	v_fma_f32 v28, -v28, v45, v29
	global_store_dword v3, v28, s[94:95] offset:4
	s_cbranch_vccnz .LBB8_56
; %bb.55:                               ;   in Loop: Header=BB8_48 Depth=3
	s_add_u32 s34, s46, s18
	s_addc_u32 s35, s47, s19
	global_store_dword v3, v3, s[34:35]
.LBB8_56:                               ;   in Loop: Header=BB8_48 Depth=3
	v_mov_b32_e32 v28, v22
	s_cbranch_execz .LBB8_59
	s_branch .LBB8_62
.LBB8_57:                               ;   in Loop: Header=BB8_48 Depth=3
                                        ; implicit-def: $vgpr26
                                        ; implicit-def: $vgpr15
	s_branch .LBB8_63
.LBB8_58:                               ;   in Loop: Header=BB8_48 Depth=3
	v_mov_b32_e32 v28, v22
.LBB8_59:                               ;   in Loop: Header=BB8_48 Depth=3
	s_add_u32 s34, s40, s18
	global_store_dword v3, v25, s[94:95]
	s_addc_u32 s35, s41, s19
	global_load_dword v28, v3, s[34:35] offset:4
	v_div_scale_f32 v46, vcc, v27, v25, v27
	global_store_dword v3, v36, s[30:31]
	v_div_scale_f32 v29, s[30:31], v25, v25, v27
	v_rcp_f32_e32 v45, v29
	v_fma_f32 v47, -v29, v45, 1.0
	v_fmac_f32_e32 v45, v47, v45
	v_mul_f32_e32 v47, v46, v45
	v_fma_f32 v48, -v29, v47, v46
	v_fmac_f32_e32 v47, v48, v45
	v_fma_f32 v29, -v29, v47, v46
	v_div_fmas_f32 v29, v29, v45, v47
	v_div_fixup_f32 v25, v29, v25, v27
	s_andn2_b64 vcc, exec, s[90:91]
	s_waitcnt vmcnt(1)
	v_fma_f32 v27, -v24, v25, v28
	global_store_dword v3, v27, s[94:95] offset:4
	s_cbranch_vccnz .LBB8_61
; %bb.60:                               ;   in Loop: Header=BB8_48 Depth=3
	global_load_dword v27, v3, s[34:35] offset:8
	s_add_u32 s30, s46, s18
	s_addc_u32 s31, s47, s19
	s_waitcnt vmcnt(0)
	global_store_dword v3, v27, s[30:31]
	v_mul_f32_e64 v27, v27, -v25
	global_store_dword v3, v27, s[34:35] offset:8
.LBB8_61:                               ;   in Loop: Header=BB8_48 Depth=3
	v_mov_b32_e32 v28, v15
	global_store_dword v3, v24, s[34:35] offset:4
	global_store_dword v3, v25, s[92:93]
.LBB8_62:                               ;   in Loop: Header=BB8_48 Depth=3
	v_mov_b32_e32 v15, v28
	s_cbranch_execnz .LBB8_66
.LBB8_63:                               ;   in Loop: Header=BB8_48 Depth=3
	s_add_u32 s30, s60, s18
	s_addc_u32 s31, s61, s19
	s_andn2_b64 vcc, exec, s[90:91]
	global_store_dword v3, v3, s[30:31]
	s_cbranch_vccnz .LBB8_65
; %bb.64:                               ;   in Loop: Header=BB8_48 Depth=3
	s_add_u32 s30, s46, s18
	s_addc_u32 s31, s47, s19
	global_store_dword v3, v3, s[30:31]
.LBB8_65:                               ;   in Loop: Header=BB8_48 Depth=3
	v_mov_b32_e32 v26, 0
	v_mov_b32_e32 v15, v22
.LBB8_66:                               ;   in Loop: Header=BB8_48 Depth=3
	v_max_f32_e32 v22, v26, v26
	v_max_f32_e32 v23, v23, v23
	;; [unrolled: 1-line block ×3, first 2 shown]
	v_cmp_nle_f32_e32 vcc, v22, v30
	s_cbranch_vccnz .LBB8_47
; %bb.67:                               ;   in Loop: Header=BB8_48 Depth=3
	global_load_dword v22, v3, s[80:81]
	s_waitcnt vmcnt(0)
	v_cmp_ne_u32_e32 vcc, 0, v22
	s_cbranch_vccnz .LBB8_47
; %bb.68:                               ;   in Loop: Header=BB8_48 Depth=3
	v_mov_b32_e32 v22, s26
	global_store_dword v3, v22, s[80:81]
	s_branch .LBB8_47
.LBB8_69:                               ;   in Loop: Header=BB8_28 Depth=2
	v_readlane_b32 s18, v52, 38
	v_readlane_b32 s19, v52, 39
	v_mul_f32_e32 v15, v30, v15
	s_nop 3
	global_load_dword v22, v3, s[18:19]
	s_waitcnt vmcnt(0)
	v_cmp_le_f32_e64 s[18:19], |v22|, v15
	s_and_b64 vcc, exec, s[18:19]
	s_cbranch_vccz .LBB8_72
; %bb.70:                               ;   in Loop: Header=BB8_28 Depth=2
	global_load_dword v15, v3, s[80:81]
	s_waitcnt vmcnt(0)
	v_cmp_ne_u32_e32 vcc, 0, v15
	s_cbranch_vccnz .LBB8_72
; %bb.71:                               ;   in Loop: Header=BB8_28 Depth=2
	global_store_dword v3, v40, s[80:81]
.LBB8_72:                               ;   in Loop: Header=BB8_28 Depth=2
	s_or_b64 exec, exec, s[16:17]
	v_sub_f32_e32 v2, v38, v2
	v_cmp_gt_f32_e64 s[90:91], |v2|, v41
	s_mov_b32 s87, 0
	s_mov_b32 s51, 0
	v_bfrev_b32_e32 v15, -2
	v_mov_b32_e32 v2, 0
	s_and_saveexec_b64 s[30:31], s[8:9]
	s_cbranch_execz .LBB8_76
.LBB8_73:                               ;   in Loop: Header=BB8_28 Depth=2
	s_mov_b64 s[92:93], 0
	v_bfrev_b32_e32 v15, -2
	v_mov_b32_e32 v2, 0
	v_pk_mov_b32 v[22:23], v[8:9], v[8:9] op_sel:[0,1]
	v_mov_b32_e32 v24, v0
.LBB8_74:                               ;   Parent Loop BB8_17 Depth=1
                                        ;     Parent Loop BB8_28 Depth=2
                                        ; =>    This Inner Loop Header: Depth=3
	global_load_dword v25, v[22:23], off
	v_add_co_u32_e32 v22, vcc, 0x400, v22
	v_cmp_eq_u32_e64 s[16:17], s23, v15
	v_add_u32_e32 v26, 1, v24
	v_add_u32_e32 v24, 0x100, v24
	v_addc_co_u32_e32 v23, vcc, 0, v23, vcc
	v_cmp_lt_i32_e64 s[18:19], s72, v24
	s_waitcnt vmcnt(0)
	v_cmp_lt_f32_e64 s[34:35], v2, |v25|
	s_or_b64 vcc, s[34:35], s[16:17]
	v_cndmask_b32_e64 v2, v2, |v25|, vcc
	s_or_b64 s[92:93], s[18:19], s[92:93]
	v_cndmask_b32_e32 v15, v15, v26, vcc
	s_andn2_b64 exec, exec, s[92:93]
	s_cbranch_execnz .LBB8_74
; %bb.75:                               ;   in Loop: Header=BB8_28 Depth=2
	s_or_b64 exec, exec, s[92:93]
.LBB8_76:                               ;   Parent Loop BB8_17 Depth=1
                                        ;     Parent Loop BB8_28 Depth=2
                                        ; =>    This Loop Header: Depth=3
                                        ;         Child Loop BB8_112 Depth 4
                                        ;         Child Loop BB8_118 Depth 4
                                        ;         Child Loop BB8_121 Depth 4
                                        ;         Child Loop BB8_124 Depth 4
                                        ;         Child Loop BB8_131 Depth 4
                                        ;           Child Loop BB8_138 Depth 5
                                        ;         Child Loop BB8_156 Depth 4
                                        ;           Child Loop BB8_157 Depth 5
                                        ;           Child Loop BB8_159 Depth 5
                                        ;         Child Loop BB8_164 Depth 4
	s_or_b64 exec, exec, s[30:31]
	ds_write2st64_b32 v31, v2, v15 offset1:8
	s_waitcnt lgkmcnt(0)
	s_barrier
	s_and_saveexec_b64 s[18:19], s[2:3]
	s_cbranch_execz .LBB8_82
; %bb.77:                               ;   in Loop: Header=BB8_76 Depth=3
	ds_read_b32 v22, v31 offset:512
	ds_read_b32 v23, v32 offset:512
	s_waitcnt lgkmcnt(1)
	v_cmp_lt_f32_e64 s[30:31], v2, v22
	v_cmp_nlt_f32_e32 vcc, v2, v22
	s_and_saveexec_b64 s[34:35], vcc
	s_cbranch_execz .LBB8_79
; %bb.78:                               ;   in Loop: Header=BB8_76 Depth=3
	v_cmp_eq_f32_e32 vcc, v2, v22
	s_waitcnt lgkmcnt(0)
	v_cmp_gt_i32_e64 s[16:17], v15, v23
	s_and_b64 s[16:17], vcc, s[16:17]
	s_andn2_b64 s[30:31], s[30:31], exec
	s_and_b64 s[16:17], s[16:17], exec
	s_or_b64 s[30:31], s[30:31], s[16:17]
.LBB8_79:                               ;   in Loop: Header=BB8_76 Depth=3
	s_or_b64 exec, exec, s[34:35]
	s_and_saveexec_b64 s[16:17], s[30:31]
	s_cbranch_execz .LBB8_81
; %bb.80:                               ;   in Loop: Header=BB8_76 Depth=3
	s_waitcnt lgkmcnt(0)
	v_mov_b32_e32 v15, v23
	v_mov_b32_e32 v2, v22
	ds_write2st64_b32 v31, v22, v23 offset1:8
.LBB8_81:                               ;   in Loop: Header=BB8_76 Depth=3
	s_or_b64 exec, exec, s[16:17]
.LBB8_82:                               ;   in Loop: Header=BB8_76 Depth=3
	s_or_b64 exec, exec, s[18:19]
	s_waitcnt lgkmcnt(0)
	s_barrier
	s_and_saveexec_b64 s[92:93], s[4:5]
	s_cbranch_execz .LBB8_109
; %bb.83:                               ;   in Loop: Header=BB8_76 Depth=3
	ds_read_b32 v22, v31 offset:256
	ds_read_b32 v23, v32 offset:256
	s_waitcnt lgkmcnt(1)
	v_cmp_lt_f32_e64 s[18:19], v2, v22
	v_cmp_nlt_f32_e32 vcc, v2, v22
	s_and_saveexec_b64 s[30:31], vcc
	s_cbranch_execz .LBB8_85
; %bb.84:                               ;   in Loop: Header=BB8_76 Depth=3
	v_cmp_eq_f32_e32 vcc, v2, v22
	s_waitcnt lgkmcnt(0)
	v_cmp_gt_i32_e64 s[16:17], v15, v23
	s_and_b64 s[16:17], vcc, s[16:17]
	s_andn2_b64 s[18:19], s[18:19], exec
	s_and_b64 s[16:17], s[16:17], exec
	s_or_b64 s[18:19], s[18:19], s[16:17]
.LBB8_85:                               ;   in Loop: Header=BB8_76 Depth=3
	s_or_b64 exec, exec, s[30:31]
	s_and_saveexec_b64 s[16:17], s[18:19]
	s_cbranch_execz .LBB8_87
; %bb.86:                               ;   in Loop: Header=BB8_76 Depth=3
	v_mov_b32_e32 v2, v22
	s_waitcnt lgkmcnt(0)
	v_mov_b32_e32 v15, v23
	ds_write2st64_b32 v31, v22, v23 offset1:8
.LBB8_87:                               ;   in Loop: Header=BB8_76 Depth=3
	s_or_b64 exec, exec, s[16:17]
	ds_read_b32 v22, v31 offset:128
	s_waitcnt lgkmcnt(1)
	ds_read_b32 v23, v32 offset:128
	s_waitcnt lgkmcnt(1)
	v_cmp_lt_f32_e64 s[18:19], v2, v22
	v_cmp_nlt_f32_e32 vcc, v2, v22
	s_and_saveexec_b64 s[30:31], vcc
	s_cbranch_execz .LBB8_89
; %bb.88:                               ;   in Loop: Header=BB8_76 Depth=3
	v_cmp_eq_f32_e32 vcc, v2, v22
	s_waitcnt lgkmcnt(0)
	v_cmp_gt_i32_e64 s[16:17], v15, v23
	s_and_b64 s[16:17], vcc, s[16:17]
	s_andn2_b64 s[18:19], s[18:19], exec
	s_and_b64 s[16:17], s[16:17], exec
	s_or_b64 s[18:19], s[18:19], s[16:17]
.LBB8_89:                               ;   in Loop: Header=BB8_76 Depth=3
	s_or_b64 exec, exec, s[30:31]
	s_and_saveexec_b64 s[16:17], s[18:19]
	s_cbranch_execz .LBB8_91
; %bb.90:                               ;   in Loop: Header=BB8_76 Depth=3
	v_mov_b32_e32 v2, v22
	s_waitcnt lgkmcnt(0)
	v_mov_b32_e32 v15, v23
	ds_write2st64_b32 v31, v22, v23 offset1:8
.LBB8_91:                               ;   in Loop: Header=BB8_76 Depth=3
	s_or_b64 exec, exec, s[16:17]
	ds_read_b32 v22, v31 offset:64
	s_waitcnt lgkmcnt(1)
	;; [unrolled: 27-line block ×4, first 2 shown]
	ds_read_b32 v23, v32 offset:16
	s_waitcnt lgkmcnt(1)
	v_cmp_lt_f32_e64 s[18:19], v2, v22
	v_cmp_nlt_f32_e32 vcc, v2, v22
	s_and_saveexec_b64 s[30:31], vcc
	s_cbranch_execz .LBB8_101
; %bb.100:                              ;   in Loop: Header=BB8_76 Depth=3
	v_cmp_eq_f32_e32 vcc, v2, v22
	s_waitcnt lgkmcnt(0)
	v_cmp_gt_i32_e64 s[16:17], v15, v23
	s_and_b64 s[16:17], vcc, s[16:17]
	s_andn2_b64 s[18:19], s[18:19], exec
	s_and_b64 s[16:17], s[16:17], exec
	s_or_b64 s[18:19], s[18:19], s[16:17]
.LBB8_101:                              ;   in Loop: Header=BB8_76 Depth=3
	s_or_b64 exec, exec, s[30:31]
	s_and_saveexec_b64 s[16:17], s[18:19]
	s_cbranch_execz .LBB8_103
; %bb.102:                              ;   in Loop: Header=BB8_76 Depth=3
	v_mov_b32_e32 v2, v22
	s_waitcnt lgkmcnt(0)
	v_mov_b32_e32 v15, v23
	ds_write2st64_b32 v31, v22, v23 offset1:8
.LBB8_103:                              ;   in Loop: Header=BB8_76 Depth=3
	s_or_b64 exec, exec, s[16:17]
	ds_read_b32 v22, v31 offset:8
	s_waitcnt lgkmcnt(1)
	ds_read_b32 v23, v32 offset:8
	s_waitcnt lgkmcnt(1)
	v_cmp_lt_f32_e64 s[18:19], v2, v22
	v_cmp_nlt_f32_e32 vcc, v2, v22
	s_and_saveexec_b64 s[30:31], vcc
	s_cbranch_execz .LBB8_105
; %bb.104:                              ;   in Loop: Header=BB8_76 Depth=3
	v_cmp_eq_f32_e32 vcc, v2, v22
	s_waitcnt lgkmcnt(0)
	v_cmp_gt_i32_e64 s[16:17], v15, v23
	s_and_b64 s[16:17], vcc, s[16:17]
	s_andn2_b64 s[18:19], s[18:19], exec
	s_and_b64 s[16:17], s[16:17], exec
	s_or_b64 s[18:19], s[18:19], s[16:17]
.LBB8_105:                              ;   in Loop: Header=BB8_76 Depth=3
	s_or_b64 exec, exec, s[30:31]
	s_and_saveexec_b64 s[16:17], s[18:19]
	s_cbranch_execz .LBB8_107
; %bb.106:                              ;   in Loop: Header=BB8_76 Depth=3
	v_mov_b32_e32 v2, v22
	s_waitcnt lgkmcnt(0)
	v_mov_b32_e32 v15, v23
	ds_write2st64_b32 v31, v22, v23 offset1:8
.LBB8_107:                              ;   in Loop: Header=BB8_76 Depth=3
	s_or_b64 exec, exec, s[16:17]
	ds_read_b32 v22, v31 offset:4
	s_waitcnt lgkmcnt(1)
	ds_read_b32 v23, v32 offset:4
	s_waitcnt lgkmcnt(1)
	v_cmp_eq_f32_e64 s[16:17], v2, v22
	s_waitcnt lgkmcnt(0)
	v_cmp_gt_i32_e64 s[18:19], v15, v23
	v_cmp_lt_f32_e32 vcc, v2, v22
	s_and_b64 s[16:17], s[16:17], s[18:19]
	s_or_b64 s[16:17], vcc, s[16:17]
	s_and_b64 exec, exec, s[16:17]
	s_cbranch_execz .LBB8_109
; %bb.108:                              ;   in Loop: Header=BB8_76 Depth=3
	ds_write2st64_b32 v31, v22, v23 offset1:8
.LBB8_109:                              ;   in Loop: Header=BB8_76 Depth=3
	s_or_b64 exec, exec, s[92:93]
	s_waitcnt lgkmcnt(0)
	s_barrier
	s_and_saveexec_b64 s[16:17], s[8:9]
	s_cbranch_execz .LBB8_119
; %bb.110:                              ;   in Loop: Header=BB8_76 Depth=3
	global_load_dword v2, v3, s[78:79]
	ds_read_b32 v22, v37
	v_mov_b32_e32 v15, s52
	s_mov_b64 s[30:31], -1
	s_waitcnt vmcnt(0)
	v_cmp_gt_f32_e64 s[18:19], |v2|, s52
	v_cndmask_b32_e64 v2, v15, |v2|, s[18:19]
	v_mul_f32_e32 v15, v43, v2
	s_waitcnt lgkmcnt(0)
	v_div_scale_f32 v23, s[18:19], v22, v22, v15
	v_rcp_f32_e32 v24, v23
	v_div_scale_f32 v25, vcc, v15, v22, v15
	v_mov_b32_e32 v2, v0
	v_fma_f32 v26, -v23, v24, 1.0
	v_fmac_f32_e32 v24, v26, v24
	v_mul_f32_e32 v26, v25, v24
	v_fma_f32 v27, -v23, v26, v25
	v_fmac_f32_e32 v26, v27, v24
	v_fma_f32 v23, -v23, v26, v25
	v_div_fmas_f32 v23, v23, v24, v26
	v_div_fixup_f32 v22, v23, v22, v15
	v_pk_mov_b32 v[24:25], v[6:7], v[6:7] op_sel:[0,1]
	s_and_saveexec_b64 s[18:19], s[12:13]
	s_cbranch_execz .LBB8_116
; %bb.111:                              ;   in Loop: Header=BB8_76 Depth=3
	v_mov_b32_e32 v23, v22
	s_mov_b64 s[30:31], 0
	v_mov_b32_e32 v15, v44
	v_pk_mov_b32 v[24:25], v[0:1], v[0:1] op_sel:[0,1]
.LBB8_112:                              ;   Parent Loop BB8_17 Depth=1
                                        ;     Parent Loop BB8_28 Depth=2
                                        ;       Parent Loop BB8_76 Depth=3
                                        ; =>      This Inner Loop Header: Depth=4
	v_mov_b32_e32 v2, v24
	v_lshlrev_b64 v[26:27], 2, v[2:3]
	v_mov_b32_e32 v45, s21
	v_mov_b32_e32 v2, v25
	v_add_co_u32_e32 v26, vcc, s20, v26
	v_lshlrev_b64 v[28:29], 2, v[2:3]
	v_addc_co_u32_e32 v27, vcc, v45, v27, vcc
	v_add_co_u32_e32 v28, vcc, s20, v28
	v_addc_co_u32_e32 v29, vcc, v45, v29, vcc
	global_load_dword v46, v[26:27], off
	global_load_dword v47, v[28:29], off
	v_add_u32_e32 v15, -2, v15
	v_cmp_eq_u32_e32 vcc, 0, v15
	v_add_u32_e32 v24, 0x200, v24
	v_add_u32_e32 v25, 0x200, v25
	s_or_b64 s[30:31], vcc, s[30:31]
	s_waitcnt vmcnt(0)
	v_pk_mul_f32 v[46:47], v[22:23], v[46:47]
	global_store_dword v[26:27], v46, off
	global_store_dword v[28:29], v47, off
	s_andn2_b64 exec, exec, s[30:31]
	s_cbranch_execnz .LBB8_112
; %bb.113:                              ;   in Loop: Header=BB8_76 Depth=3
	s_or_b64 exec, exec, s[30:31]
	s_mov_b64 s[30:31], 0
                                        ; implicit-def: $vgpr24_vgpr25
	s_and_saveexec_b64 s[34:35], s[14:15]
; %bb.114:                              ;   in Loop: Header=BB8_76 Depth=3
	v_mov_b32_e32 v15, v3
	s_mov_b64 s[30:31], exec
	v_lshlrev_b64 v[24:25], 2, v[14:15]
; %bb.115:                              ;   in Loop: Header=BB8_76 Depth=3
	s_or_b64 exec, exec, s[34:35]
	s_orn2_b64 s[30:31], s[30:31], exec
	v_mov_b32_e32 v2, v14
.LBB8_116:                              ;   in Loop: Header=BB8_76 Depth=3
	s_or_b64 exec, exec, s[18:19]
	s_and_b64 exec, exec, s[30:31]
	s_cbranch_execz .LBB8_119
; %bb.117:                              ;   in Loop: Header=BB8_76 Depth=3
	v_mov_b32_e32 v15, s21
	v_add_co_u32_e32 v24, vcc, s20, v24
	v_addc_co_u32_e32 v25, vcc, v15, v25, vcc
	s_mov_b64 s[18:19], 0
.LBB8_118:                              ;   Parent Loop BB8_17 Depth=1
                                        ;     Parent Loop BB8_28 Depth=2
                                        ;       Parent Loop BB8_76 Depth=3
                                        ; =>      This Inner Loop Header: Depth=4
	global_load_dword v15, v[24:25], off
	v_add_u32_e32 v2, 0x100, v2
	v_cmp_lt_i32_e32 vcc, s72, v2
	s_or_b64 s[18:19], vcc, s[18:19]
	s_waitcnt vmcnt(0)
	v_mul_f32_e32 v15, v22, v15
	global_store_dword v[24:25], v15, off
	v_add_co_u32_e32 v24, vcc, 0x400, v24
	v_addc_co_u32_e32 v25, vcc, 0, v25, vcc
	s_andn2_b64 exec, exec, s[18:19]
	s_cbranch_execnz .LBB8_118
.LBB8_119:                              ;   in Loop: Header=BB8_76 Depth=3
	s_or_b64 exec, exec, s[16:17]
	s_barrier
	s_and_saveexec_b64 s[18:19], s[0:1]
	s_cbranch_execz .LBB8_152
; %bb.120:                              ;   in Loop: Header=BB8_76 Depth=3
	global_load_dwordx2 v[22:23], v3, s[38:39]
	global_load_dword v2, v3, s[54:55]
	s_mov_b64 s[16:17], s[44:45]
	s_mov_b64 s[30:31], s[58:59]
	;; [unrolled: 1-line block ×3, first 2 shown]
	s_andn2_b64 vcc, exec, s[84:85]
	s_mov_b32 s26, s67
	s_waitcnt vmcnt(0)
	v_max3_f32 v2, |v22|, |v23|, |v2|
	s_cbranch_vccnz .LBB8_122
.LBB8_121:                              ;   Parent Loop BB8_17 Depth=1
                                        ;     Parent Loop BB8_28 Depth=2
                                        ;       Parent Loop BB8_76 Depth=3
                                        ; =>      This Inner Loop Header: Depth=4
	global_load_dword v15, v3, s[92:93]
	global_load_dword v22, v3, s[16:17]
	;; [unrolled: 1-line block ×3, first 2 shown]
	s_add_i32 s26, s26, -1
	s_add_u32 s92, s92, 4
	s_addc_u32 s93, s93, 0
	s_add_u32 s30, s30, 4
	s_addc_u32 s31, s31, 0
	s_add_u32 s16, s16, 4
	s_addc_u32 s17, s17, 0
	s_cmp_lg_u32 s26, 0
	s_waitcnt vmcnt(2)
	v_max_f32_e64 v15, |v15|, |v15|
	s_waitcnt vmcnt(1)
	v_max_f32_e64 v22, |v22|, |v22|
	v_max_f32_e32 v15, v22, v15
	s_waitcnt vmcnt(0)
	v_max3_f32 v2, v2, |v23|, v15
	s_cbranch_scc1 .LBB8_121
.LBB8_122:                              ;   in Loop: Header=BB8_76 Depth=3
	s_mov_b32 s26, 1
	s_mov_b64 s[16:17], 0
	s_mov_b32 s92, s72
	s_branch .LBB8_124
.LBB8_123:                              ;   in Loop: Header=BB8_124 Depth=4
	s_add_u32 s34, s34, s16
	s_addc_u32 s35, s35, s17
	global_load_dword v15, v3, s[34:35]
	s_add_i32 s26, s26, 1
	s_add_u32 s16, s16, 4
	s_addc_u32 s17, s17, 0
	s_add_i32 s92, s92, -1
	s_cmp_lg_u32 s92, 0
	s_waitcnt vmcnt(0)
	v_fma_f32 v15, -v23, v15, v22
	global_store_dword v3, v15, s[30:31]
	s_cbranch_scc0 .LBB8_128
.LBB8_124:                              ;   Parent Loop BB8_17 Depth=1
                                        ;     Parent Loop BB8_28 Depth=2
                                        ;       Parent Loop BB8_76 Depth=3
                                        ; =>      This Inner Loop Header: Depth=4
	s_add_u32 s30, s60, s16
	s_addc_u32 s31, s61, s17
	global_load_dword v15, v3, s[30:31]
	s_waitcnt vmcnt(0)
	v_cmp_ne_u32_e32 vcc, 0, v15
	s_cbranch_vccz .LBB8_126
; %bb.125:                              ;   in Loop: Header=BB8_124 Depth=4
	s_add_u32 s34, s20, s16
	s_addc_u32 s35, s21, s17
	global_load_dwordx2 v[22:23], v3, s[34:35]
	s_lshl_b64 s[30:31], s[26:27], 2
	s_add_u32 s30, s20, s30
	s_addc_u32 s31, s21, s31
	s_waitcnt vmcnt(0)
	global_store_dword v3, v23, s[34:35]
	s_mov_b64 s[34:35], s[42:43]
	s_cbranch_execnz .LBB8_123
	s_branch .LBB8_127
.LBB8_126:                              ;   in Loop: Header=BB8_124 Depth=4
                                        ; implicit-def: $vgpr22
                                        ; implicit-def: $sgpr30_sgpr31
	s_mov_b64 s[34:35], s[42:43]
.LBB8_127:                              ;   in Loop: Header=BB8_124 Depth=4
	s_add_u32 s34, s20, s16
	s_addc_u32 s35, s21, s17
	s_add_u32 s30, s34, 4
	s_addc_u32 s31, s35, 0
	;; [unrolled: 2-line block ×3, first 2 shown]
	global_load_dword v22, v3, s[34:35] offset:4
	global_load_dword v23, v3, s[94:95]
	s_mov_b64 s[34:35], s[20:21]
	s_branch .LBB8_123
.LBB8_128:                              ;   in Loop: Header=BB8_76 Depth=3
	v_mul_f32_e32 v2, s52, v2
	v_mov_b32_e32 v15, s52
	v_cmp_eq_f32_e32 vcc, 0, v2
	v_cndmask_b32_e32 v2, v2, v15, vcc
	v_and_b32_e32 v15, 0x7fffffff, v2
	s_mov_b32 s26, s72
	s_branch .LBB8_131
.LBB8_129:                              ;   in Loop: Header=BB8_131 Depth=4
	v_mov_b32_e32 v26, v25
	v_mov_b32_e32 v22, v24
.LBB8_130:                              ;   in Loop: Header=BB8_131 Depth=4
	v_div_scale_f32 v23, s[16:17], v26, v26, v22
	v_rcp_f32_e32 v24, v23
	v_div_scale_f32 v25, vcc, v22, v26, v22
	s_add_i32 s16, s26, -1
	v_fma_f32 v27, -v23, v24, 1.0
	v_fmac_f32_e32 v24, v27, v24
	v_mul_f32_e32 v27, v25, v24
	v_fma_f32 v28, -v23, v27, v25
	v_fmac_f32_e32 v27, v28, v24
	v_fma_f32 v23, -v23, v27, v25
	v_div_fmas_f32 v23, v23, v24, v27
	v_div_fixup_f32 v22, v23, v26, v22
	s_cmp_gt_i32 s26, 0
	s_mov_b32 s26, s16
	global_store_dword v3, v22, s[92:93]
	s_cbranch_scc0 .LBB8_152
.LBB8_131:                              ;   Parent Loop BB8_17 Depth=1
                                        ;     Parent Loop BB8_28 Depth=2
                                        ;       Parent Loop BB8_76 Depth=3
                                        ; =>      This Loop Header: Depth=4
                                        ;           Child Loop BB8_138 Depth 5
	s_lshl_b64 s[16:17], s[26:27], 2
	s_add_u32 s92, s20, s16
	s_addc_u32 s93, s21, s17
	global_load_dword v22, v3, s[92:93]
	s_cmp_ge_i32 s26, s72
	s_cbranch_scc1 .LBB8_133
; %bb.132:                              ;   in Loop: Header=BB8_131 Depth=4
	s_add_u32 s30, s54, s16
	s_addc_u32 s31, s55, s17
	global_load_dword v23, v3, s[30:31]
	global_load_dword v24, v3, s[92:93] offset:4
	s_waitcnt vmcnt(0)
	v_fma_f32 v22, -v23, v24, v22
.LBB8_133:                              ;   in Loop: Header=BB8_131 Depth=4
	s_cmp_ge_i32 s26, s67
	s_cbranch_scc1 .LBB8_135
; %bb.134:                              ;   in Loop: Header=BB8_131 Depth=4
	s_add_u32 s30, s46, s16
	s_addc_u32 s31, s47, s17
	global_load_dword v23, v3, s[30:31]
	global_load_dword v24, v3, s[92:93] offset:8
	s_waitcnt vmcnt(0)
	v_fma_f32 v22, -v23, v24, v22
.LBB8_135:                              ;   in Loop: Header=BB8_131 Depth=4
	s_add_u32 s16, s38, s16
	s_addc_u32 s17, s39, s17
	global_load_dword v26, v3, s[16:17]
	s_waitcnt vmcnt(0)
	v_cmp_nlt_f32_e64 s[16:17], |v26|, 1.0
	s_and_b64 vcc, exec, s[16:17]
	s_cbranch_vccnz .LBB8_130
; %bb.136:                              ;   in Loop: Header=BB8_131 Depth=4
	v_cmp_nle_f32_e32 vcc, 0, v26
	v_and_b32_e32 v28, 0x7fffffff, v26
	v_cndmask_b32_e64 v27, |v2|, -v15, vcc
	v_mul_f32_e64 v24, |v22|, s53
	s_branch .LBB8_138
.LBB8_137:                              ;   in Loop: Header=BB8_138 Depth=5
	v_add_f32_e32 v25, v26, v27
	v_add_f32_e32 v27, v27, v27
	v_and_b32_e32 v28, 0x7fffffff, v25
	v_cmp_nlt_f32_e64 s[34:35], |v25|, 1.0
	s_mov_b64 s[16:17], 0
	s_mov_b64 s[30:31], 0
	v_mov_b32_e32 v23, v26
	s_andn2_b64 vcc, exec, s[34:35]
	v_mov_b32_e32 v26, v25
	s_cbranch_vccz .LBB8_144
.LBB8_138:                              ;   Parent Loop BB8_17 Depth=1
                                        ;     Parent Loop BB8_28 Depth=2
                                        ;       Parent Loop BB8_76 Depth=3
                                        ;         Parent Loop BB8_131 Depth=4
                                        ; =>        This Inner Loop Header: Depth=5
	v_cmp_ngt_f32_e32 vcc, s53, v28
	s_cbranch_vccz .LBB8_140
; %bb.139:                              ;   in Loop: Header=BB8_138 Depth=5
	v_mul_f32_e32 v23, v4, v28
	v_cmp_gt_f32_e64 s[94:95], |v22|, v23
	s_mov_b64 s[30:31], -1
	s_mov_b64 s[16:17], 0
	v_mov_b32_e32 v23, v26
	s_cbranch_execz .LBB8_141
	s_branch .LBB8_142
.LBB8_140:                              ;   in Loop: Header=BB8_138 Depth=5
	s_mov_b64 s[16:17], -1
	s_mov_b64 s[94:95], 0
                                        ; implicit-def: $sgpr30_sgpr31
	v_mov_b32_e32 v23, v26
.LBB8_141:                              ;   in Loop: Header=BB8_138 Depth=5
	v_cmp_eq_f32_e32 vcc, 0, v26
	v_cmp_gt_f32_e64 s[16:17], v24, v28
	s_or_b64 s[94:95], vcc, s[16:17]
	s_mov_b64 s[30:31], 0
	s_mov_b64 s[16:17], -1
	v_mov_b32_e32 v23, v26
.LBB8_142:                              ;   in Loop: Header=BB8_138 Depth=5
	s_andn2_b64 vcc, exec, s[94:95]
	s_cbranch_vccz .LBB8_137
; %bb.143:                              ;   in Loop: Header=BB8_131 Depth=4
                                        ; implicit-def: $vgpr27
                                        ; implicit-def: $vgpr25
                                        ; implicit-def: $vgpr28
	v_mov_b32_e32 v26, v25
.LBB8_144:                              ;   in Loop: Header=BB8_131 Depth=4
	s_mov_b64 s[34:35], -1
	s_and_b64 vcc, exec, s[30:31]
	s_cbranch_vccnz .LBB8_147
; %bb.145:                              ;   in Loop: Header=BB8_131 Depth=4
	s_xor_b64 s[16:17], s[16:17], -1
	s_and_b64 vcc, exec, s[16:17]
	s_cbranch_vccz .LBB8_148
; %bb.146:                              ;   in Loop: Header=BB8_131 Depth=4
	v_mov_b32_e32 v24, v22
	s_cbranch_execz .LBB8_149
	s_branch .LBB8_150
.LBB8_147:                              ;   in Loop: Header=BB8_131 Depth=4
                                        ; implicit-def: $vgpr25
	s_andn2_b64 vcc, exec, s[34:35]
	s_cbranch_vccnz .LBB8_129
	s_branch .LBB8_151
.LBB8_148:                              ;   in Loop: Header=BB8_131 Depth=4
                                        ; implicit-def: $vgpr25
	v_mov_b32_e32 v24, v22
.LBB8_149:                              ;   in Loop: Header=BB8_131 Depth=4
	v_pk_mul_f32 v[24:25], v[4:5], v[22:23]
.LBB8_150:                              ;   in Loop: Header=BB8_131 Depth=4
	s_cbranch_execnz .LBB8_129
.LBB8_151:                              ;   in Loop: Header=BB8_131 Depth=4
	v_mov_b32_e32 v25, v23
	v_mov_b32_e32 v24, v22
	s_branch .LBB8_129
.LBB8_152:                              ;   in Loop: Header=BB8_76 Depth=3
	s_or_b64 exec, exec, s[18:19]
	s_andn2_b64 vcc, exec, s[88:89]
	s_barrier
	s_cbranch_vccnz .LBB8_162
; %bb.153:                              ;   in Loop: Header=BB8_76 Depth=3
	s_and_b64 s[16:17], s[90:91], exec
	s_cselect_b32 s26, s86, s29
	s_cmp_eq_u32 s26, s86
	s_mov_b32 s29, s86
	s_cbranch_scc1 .LBB8_162
; %bb.154:                              ;   in Loop: Header=BB8_76 Depth=3
	s_cmp_lt_i32 s26, s86
	s_cselect_b64 s[16:17], -1, 0
	s_and_b64 s[18:19], s[0:1], s[16:17]
	s_and_saveexec_b64 s[16:17], s[18:19]
	s_cbranch_execz .LBB8_161
; %bb.155:                              ;   in Loop: Header=BB8_76 Depth=3
	s_mul_i32 s18, s37, s26
	s_add_i32 s29, s68, s18
	s_mov_b32 s34, s26
.LBB8_156:                              ;   Parent Loop BB8_17 Depth=1
                                        ;     Parent Loop BB8_28 Depth=2
                                        ;       Parent Loop BB8_76 Depth=3
                                        ; =>      This Loop Header: Depth=4
                                        ;           Child Loop BB8_157 Depth 5
                                        ;           Child Loop BB8_159 Depth 5
	v_mov_b32_e32 v2, 0
	s_mov_b64 s[18:19], s[20:21]
	s_mov_b32 s30, s29
	s_mov_b32 s35, s71
.LBB8_157:                              ;   Parent Loop BB8_17 Depth=1
                                        ;     Parent Loop BB8_28 Depth=2
                                        ;       Parent Loop BB8_76 Depth=3
                                        ;         Parent Loop BB8_156 Depth=4
                                        ; =>        This Inner Loop Header: Depth=5
	s_ashr_i32 s31, s30, 31
	s_lshl_b64 s[92:93], s[30:31], 2
	s_add_u32 s92, s36, s92
	s_addc_u32 s93, s49, s93
	global_load_dword v15, v3, s[18:19]
	global_load_dword v22, v3, s[92:93]
	s_add_i32 s35, s35, -1
	s_add_i32 s30, s30, 1
	s_add_u32 s18, s18, 4
	s_addc_u32 s19, s19, 0
	s_cmp_lg_u32 s35, 0
	s_waitcnt vmcnt(0)
	v_fmac_f32_e32 v2, v15, v22
	s_cbranch_scc1 .LBB8_157
; %bb.158:                              ;   in Loop: Header=BB8_156 Depth=4
	s_mov_b32 s30, 0
	s_mov_b64 s[18:19], s[20:21]
.LBB8_159:                              ;   Parent Loop BB8_17 Depth=1
                                        ;     Parent Loop BB8_28 Depth=2
                                        ;       Parent Loop BB8_76 Depth=3
                                        ;         Parent Loop BB8_156 Depth=4
                                        ; =>        This Inner Loop Header: Depth=5
	s_add_i32 s92, s29, s30
	s_ashr_i32 s93, s92, 31
	s_lshl_b64 s[92:93], s[92:93], 2
	s_add_u32 s92, s36, s92
	s_addc_u32 s93, s49, s93
	global_load_dword v15, v3, s[18:19]
	global_load_dword v22, v3, s[92:93]
	s_add_i32 s30, s30, 1
	s_waitcnt vmcnt(0)
	v_fma_f32 v15, -v2, v22, v15
	global_store_dword v3, v15, s[18:19]
	s_add_u32 s18, s18, 4
	s_addc_u32 s19, s19, 0
	s_cmp_lg_u32 s71, s30
	s_cbranch_scc1 .LBB8_159
; %bb.160:                              ;   in Loop: Header=BB8_156 Depth=4
	s_add_i32 s34, s34, 1
	s_add_i32 s29, s29, s37
	s_cmp_lt_i32 s34, s86
	s_cbranch_scc1 .LBB8_156
.LBB8_161:                              ;   in Loop: Header=BB8_76 Depth=3
	s_or_b64 exec, exec, s[16:17]
	s_mov_b32 s29, s26
	s_barrier
.LBB8_162:                              ;   in Loop: Header=BB8_76 Depth=3
	v_bfrev_b32_e32 v15, -2
	v_mov_b32_e32 v2, 0
	s_and_saveexec_b64 s[30:31], s[8:9]
	s_cbranch_execz .LBB8_166
; %bb.163:                              ;   in Loop: Header=BB8_76 Depth=3
	s_mov_b64 s[92:93], 0
	v_bfrev_b32_e32 v15, -2
	v_mov_b32_e32 v2, 0
	v_pk_mov_b32 v[22:23], v[8:9], v[8:9] op_sel:[0,1]
	v_mov_b32_e32 v24, v0
.LBB8_164:                              ;   Parent Loop BB8_17 Depth=1
                                        ;     Parent Loop BB8_28 Depth=2
                                        ;       Parent Loop BB8_76 Depth=3
                                        ; =>      This Inner Loop Header: Depth=4
	global_load_dword v25, v[22:23], off
	v_add_co_u32_e32 v22, vcc, 0x400, v22
	v_cmp_eq_u32_e64 s[16:17], s23, v15
	v_add_u32_e32 v26, 1, v24
	v_add_u32_e32 v24, 0x100, v24
	v_addc_co_u32_e32 v23, vcc, 0, v23, vcc
	v_cmp_lt_i32_e64 s[18:19], s72, v24
	s_waitcnt vmcnt(0)
	v_cmp_lt_f32_e64 s[34:35], v2, |v25|
	s_or_b64 vcc, s[34:35], s[16:17]
	v_cndmask_b32_e64 v2, v2, |v25|, vcc
	s_or_b64 s[92:93], s[18:19], s[92:93]
	v_cndmask_b32_e32 v15, v15, v26, vcc
	s_andn2_b64 exec, exec, s[92:93]
	s_cbranch_execnz .LBB8_164
; %bb.165:                              ;   in Loop: Header=BB8_76 Depth=3
	s_or_b64 exec, exec, s[92:93]
.LBB8_166:                              ;   in Loop: Header=BB8_76 Depth=3
	s_or_b64 exec, exec, s[30:31]
	ds_write2st64_b32 v31, v2, v15 offset1:8
	s_waitcnt lgkmcnt(0)
	s_barrier
	s_and_saveexec_b64 s[18:19], s[2:3]
	s_cbranch_execz .LBB8_172
; %bb.167:                              ;   in Loop: Header=BB8_76 Depth=3
	ds_read_b32 v22, v31 offset:512
	ds_read_b32 v23, v32 offset:512
	s_waitcnt lgkmcnt(1)
	v_cmp_lt_f32_e64 s[30:31], v2, v22
	v_cmp_nlt_f32_e32 vcc, v2, v22
	s_and_saveexec_b64 s[34:35], vcc
	s_cbranch_execz .LBB8_169
; %bb.168:                              ;   in Loop: Header=BB8_76 Depth=3
	v_cmp_eq_f32_e32 vcc, v2, v22
	s_waitcnt lgkmcnt(0)
	v_cmp_gt_i32_e64 s[16:17], v15, v23
	s_and_b64 s[16:17], vcc, s[16:17]
	s_andn2_b64 s[30:31], s[30:31], exec
	s_and_b64 s[16:17], s[16:17], exec
	s_or_b64 s[30:31], s[30:31], s[16:17]
.LBB8_169:                              ;   in Loop: Header=BB8_76 Depth=3
	s_or_b64 exec, exec, s[34:35]
	s_and_saveexec_b64 s[16:17], s[30:31]
	s_cbranch_execz .LBB8_171
; %bb.170:                              ;   in Loop: Header=BB8_76 Depth=3
	s_waitcnt lgkmcnt(0)
	v_mov_b32_e32 v15, v23
	v_mov_b32_e32 v2, v22
	ds_write2st64_b32 v31, v22, v23 offset1:8
.LBB8_171:                              ;   in Loop: Header=BB8_76 Depth=3
	s_or_b64 exec, exec, s[16:17]
.LBB8_172:                              ;   in Loop: Header=BB8_76 Depth=3
	s_or_b64 exec, exec, s[18:19]
	s_waitcnt lgkmcnt(0)
	s_barrier
	s_and_saveexec_b64 s[92:93], s[4:5]
	s_cbranch_execz .LBB8_199
; %bb.173:                              ;   in Loop: Header=BB8_76 Depth=3
	ds_read_b32 v22, v31 offset:256
	ds_read_b32 v23, v32 offset:256
	s_waitcnt lgkmcnt(1)
	v_cmp_lt_f32_e64 s[18:19], v2, v22
	v_cmp_nlt_f32_e32 vcc, v2, v22
	s_and_saveexec_b64 s[30:31], vcc
	s_cbranch_execz .LBB8_175
; %bb.174:                              ;   in Loop: Header=BB8_76 Depth=3
	v_cmp_eq_f32_e32 vcc, v2, v22
	s_waitcnt lgkmcnt(0)
	v_cmp_gt_i32_e64 s[16:17], v15, v23
	s_and_b64 s[16:17], vcc, s[16:17]
	s_andn2_b64 s[18:19], s[18:19], exec
	s_and_b64 s[16:17], s[16:17], exec
	s_or_b64 s[18:19], s[18:19], s[16:17]
.LBB8_175:                              ;   in Loop: Header=BB8_76 Depth=3
	s_or_b64 exec, exec, s[30:31]
	s_and_saveexec_b64 s[16:17], s[18:19]
	s_cbranch_execz .LBB8_177
; %bb.176:                              ;   in Loop: Header=BB8_76 Depth=3
	v_mov_b32_e32 v2, v22
	s_waitcnt lgkmcnt(0)
	v_mov_b32_e32 v15, v23
	ds_write2st64_b32 v31, v22, v23 offset1:8
.LBB8_177:                              ;   in Loop: Header=BB8_76 Depth=3
	s_or_b64 exec, exec, s[16:17]
	ds_read_b32 v22, v31 offset:128
	s_waitcnt lgkmcnt(1)
	ds_read_b32 v23, v32 offset:128
	s_waitcnt lgkmcnt(1)
	v_cmp_lt_f32_e64 s[18:19], v2, v22
	v_cmp_nlt_f32_e32 vcc, v2, v22
	s_and_saveexec_b64 s[30:31], vcc
	s_cbranch_execz .LBB8_179
; %bb.178:                              ;   in Loop: Header=BB8_76 Depth=3
	v_cmp_eq_f32_e32 vcc, v2, v22
	s_waitcnt lgkmcnt(0)
	v_cmp_gt_i32_e64 s[16:17], v15, v23
	s_and_b64 s[16:17], vcc, s[16:17]
	s_andn2_b64 s[18:19], s[18:19], exec
	s_and_b64 s[16:17], s[16:17], exec
	s_or_b64 s[18:19], s[18:19], s[16:17]
.LBB8_179:                              ;   in Loop: Header=BB8_76 Depth=3
	s_or_b64 exec, exec, s[30:31]
	s_and_saveexec_b64 s[16:17], s[18:19]
	s_cbranch_execz .LBB8_181
; %bb.180:                              ;   in Loop: Header=BB8_76 Depth=3
	v_mov_b32_e32 v2, v22
	s_waitcnt lgkmcnt(0)
	v_mov_b32_e32 v15, v23
	ds_write2st64_b32 v31, v22, v23 offset1:8
.LBB8_181:                              ;   in Loop: Header=BB8_76 Depth=3
	s_or_b64 exec, exec, s[16:17]
	ds_read_b32 v22, v31 offset:64
	s_waitcnt lgkmcnt(1)
	;; [unrolled: 27-line block ×6, first 2 shown]
	ds_read_b32 v23, v32 offset:4
	s_waitcnt lgkmcnt(1)
	v_cmp_eq_f32_e64 s[16:17], v2, v22
	s_waitcnt lgkmcnt(0)
	v_cmp_gt_i32_e64 s[18:19], v15, v23
	v_cmp_lt_f32_e32 vcc, v2, v22
	s_and_b64 s[16:17], s[16:17], s[18:19]
	s_or_b64 s[16:17], vcc, s[16:17]
	s_and_b64 exec, exec, s[16:17]
	s_cbranch_execz .LBB8_199
; %bb.198:                              ;   in Loop: Header=BB8_76 Depth=3
	ds_write2st64_b32 v31, v22, v23 offset1:8
.LBB8_199:                              ;   in Loop: Header=BB8_76 Depth=3
	s_or_b64 exec, exec, s[92:93]
	s_waitcnt lgkmcnt(0)
	s_barrier
	ds_read_b32 v2, v37
	s_waitcnt lgkmcnt(0)
	v_cmp_ge_f32_e32 vcc, v2, v42
	s_cmp_lg_u64 vcc, 0
	s_addc_u32 s87, s87, 0
	s_add_i32 s18, s51, 1
	s_cmp_lt_u32 s51, 4
	s_cselect_b64 s[30:31], -1, 0
	s_cmp_lt_u32 s87, 2
	s_cselect_b64 s[16:17], -1, 0
	s_and_b64 s[30:31], s[30:31], s[16:17]
	s_and_b64 vcc, exec, s[30:31]
	s_cbranch_vccz .LBB8_201
; %bb.200:                              ;   in Loop: Header=BB8_76 Depth=3
	s_mov_b32 s51, s18
	v_bfrev_b32_e32 v15, -2
	v_mov_b32_e32 v2, 0
	s_and_saveexec_b64 s[30:31], s[8:9]
	s_cbranch_execnz .LBB8_73
	s_branch .LBB8_76
.LBB8_201:                              ;   in Loop: Header=BB8_28 Depth=2
	v_readlane_b32 s18, v52, 14
	v_readlane_b32 s19, v52, 15
	s_and_b64 s[18:19], s[18:19], s[16:17]
	s_and_saveexec_b64 s[16:17], s[18:19]
	s_cbranch_execz .LBB8_203
; %bb.202:                              ;   in Loop: Header=BB8_28 Depth=2
	ds_read_b32 v22, v3
	v_readlane_b32 s30, v52, 2
	v_readlane_b32 s31, v52, 3
	s_add_i32 s18, s86, 1
	v_mov_b32_e32 v2, s31
	s_waitcnt lgkmcnt(0)
	v_ashrrev_i32_e32 v23, 31, v22
	v_lshlrev_b64 v[24:25], 2, v[22:23]
	v_add_co_u32_e32 v24, vcc, s30, v24
	v_addc_co_u32_e32 v25, vcc, v2, v25, vcc
	v_mov_b32_e32 v2, s18
	flat_store_dword v[24:25], v2
	v_add_u32_e32 v2, 1, v22
	ds_write_b32 v3, v2
.LBB8_203:                              ;   in Loop: Header=BB8_28 Depth=2
	s_or_b64 exec, exec, s[16:17]
	v_bfrev_b32_e32 v15, -2
	v_mov_b32_e32 v2, 0
	s_and_saveexec_b64 s[30:31], s[8:9]
	s_cbranch_execz .LBB8_207
; %bb.204:                              ;   in Loop: Header=BB8_28 Depth=2
	s_mov_b64 s[88:89], 0
	v_bfrev_b32_e32 v15, -2
	v_mov_b32_e32 v2, 0
	v_pk_mov_b32 v[22:23], v[8:9], v[8:9] op_sel:[0,1]
	v_mov_b32_e32 v24, v0
.LBB8_205:                              ;   Parent Loop BB8_17 Depth=1
                                        ;     Parent Loop BB8_28 Depth=2
                                        ; =>    This Inner Loop Header: Depth=3
	global_load_dword v25, v[22:23], off
	v_add_co_u32_e32 v22, vcc, 0x400, v22
	v_cmp_eq_u32_e64 s[16:17], s23, v15
	v_add_u32_e32 v26, 1, v24
	v_add_u32_e32 v24, 0x100, v24
	v_addc_co_u32_e32 v23, vcc, 0, v23, vcc
	v_cmp_lt_i32_e64 s[18:19], s72, v24
	s_waitcnt vmcnt(0)
	v_cmp_lt_f32_e64 s[34:35], v2, |v25|
	s_or_b64 vcc, s[34:35], s[16:17]
	v_cndmask_b32_e64 v2, v2, |v25|, vcc
	s_or_b64 s[88:89], s[18:19], s[88:89]
	v_cndmask_b32_e32 v15, v15, v26, vcc
	s_andn2_b64 exec, exec, s[88:89]
	s_cbranch_execnz .LBB8_205
; %bb.206:                              ;   in Loop: Header=BB8_28 Depth=2
	s_or_b64 exec, exec, s[88:89]
.LBB8_207:                              ;   in Loop: Header=BB8_28 Depth=2
	s_or_b64 exec, exec, s[30:31]
	ds_write2st64_b32 v31, v2, v15 offset1:8
	s_waitcnt lgkmcnt(0)
	s_barrier
	s_and_saveexec_b64 s[18:19], s[2:3]
	s_cbranch_execz .LBB8_213
; %bb.208:                              ;   in Loop: Header=BB8_28 Depth=2
	ds_read_b32 v22, v31 offset:512
	ds_read_b32 v23, v32 offset:512
	s_waitcnt lgkmcnt(0)
	v_cmp_lt_f32_e64 s[30:31], v2, v22
	v_cmp_nlt_f32_e32 vcc, v2, v22
	s_and_saveexec_b64 s[34:35], vcc
; %bb.209:                              ;   in Loop: Header=BB8_28 Depth=2
	v_cmp_eq_f32_e32 vcc, v2, v22
	v_cmp_gt_i32_e64 s[16:17], v15, v23
	s_and_b64 s[16:17], vcc, s[16:17]
	s_andn2_b64 s[30:31], s[30:31], exec
	s_and_b64 s[16:17], s[16:17], exec
	s_or_b64 s[30:31], s[30:31], s[16:17]
; %bb.210:                              ;   in Loop: Header=BB8_28 Depth=2
	s_or_b64 exec, exec, s[34:35]
	s_and_saveexec_b64 s[16:17], s[30:31]
	s_cbranch_execz .LBB8_212
; %bb.211:                              ;   in Loop: Header=BB8_28 Depth=2
	v_mov_b32_e32 v15, v23
	v_mov_b32_e32 v2, v22
	ds_write2st64_b32 v31, v22, v23 offset1:8
.LBB8_212:                              ;   in Loop: Header=BB8_28 Depth=2
	s_or_b64 exec, exec, s[16:17]
.LBB8_213:                              ;   in Loop: Header=BB8_28 Depth=2
	s_or_b64 exec, exec, s[18:19]
	s_waitcnt lgkmcnt(0)
	s_barrier
	s_and_saveexec_b64 s[88:89], s[4:5]
	s_cbranch_execz .LBB8_240
; %bb.214:                              ;   in Loop: Header=BB8_28 Depth=2
	ds_read_b32 v22, v31 offset:256
	ds_read_b32 v23, v32 offset:256
	s_waitcnt lgkmcnt(0)
	v_cmp_lt_f32_e64 s[18:19], v2, v22
	v_cmp_nlt_f32_e32 vcc, v2, v22
	s_and_saveexec_b64 s[30:31], vcc
; %bb.215:                              ;   in Loop: Header=BB8_28 Depth=2
	v_cmp_eq_f32_e32 vcc, v2, v22
	v_cmp_gt_i32_e64 s[16:17], v15, v23
	s_and_b64 s[16:17], vcc, s[16:17]
	s_andn2_b64 s[18:19], s[18:19], exec
	s_and_b64 s[16:17], s[16:17], exec
	s_or_b64 s[18:19], s[18:19], s[16:17]
; %bb.216:                              ;   in Loop: Header=BB8_28 Depth=2
	s_or_b64 exec, exec, s[30:31]
	s_and_saveexec_b64 s[16:17], s[18:19]
	s_cbranch_execz .LBB8_218
; %bb.217:                              ;   in Loop: Header=BB8_28 Depth=2
	v_mov_b32_e32 v2, v22
	v_mov_b32_e32 v15, v23
	ds_write2st64_b32 v31, v22, v23 offset1:8
.LBB8_218:                              ;   in Loop: Header=BB8_28 Depth=2
	s_or_b64 exec, exec, s[16:17]
	ds_read_b32 v22, v31 offset:128
	ds_read_b32 v23, v32 offset:128
	s_waitcnt lgkmcnt(0)
	v_cmp_lt_f32_e64 s[18:19], v2, v22
	v_cmp_nlt_f32_e32 vcc, v2, v22
	s_and_saveexec_b64 s[30:31], vcc
; %bb.219:                              ;   in Loop: Header=BB8_28 Depth=2
	v_cmp_eq_f32_e32 vcc, v2, v22
	v_cmp_gt_i32_e64 s[16:17], v15, v23
	s_and_b64 s[16:17], vcc, s[16:17]
	s_andn2_b64 s[18:19], s[18:19], exec
	s_and_b64 s[16:17], s[16:17], exec
	s_or_b64 s[18:19], s[18:19], s[16:17]
; %bb.220:                              ;   in Loop: Header=BB8_28 Depth=2
	s_or_b64 exec, exec, s[30:31]
	s_and_saveexec_b64 s[16:17], s[18:19]
	s_cbranch_execz .LBB8_222
; %bb.221:                              ;   in Loop: Header=BB8_28 Depth=2
	v_mov_b32_e32 v2, v22
	v_mov_b32_e32 v15, v23
	ds_write2st64_b32 v31, v22, v23 offset1:8
.LBB8_222:                              ;   in Loop: Header=BB8_28 Depth=2
	s_or_b64 exec, exec, s[16:17]
	;; [unrolled: 23-line block ×6, first 2 shown]
	ds_read_b32 v22, v31 offset:4
	ds_read_b32 v23, v32 offset:4
	s_waitcnt lgkmcnt(0)
	v_cmp_eq_f32_e64 s[16:17], v2, v22
	v_cmp_gt_i32_e64 s[18:19], v15, v23
	v_cmp_lt_f32_e32 vcc, v2, v22
	s_and_b64 s[16:17], s[16:17], s[18:19]
	s_or_b64 s[16:17], vcc, s[16:17]
	s_and_b64 exec, exec, s[16:17]
	s_cbranch_execz .LBB8_240
; %bb.239:                              ;   in Loop: Header=BB8_28 Depth=2
	ds_write2st64_b32 v31, v22, v23 offset1:8
.LBB8_240:                              ;   in Loop: Header=BB8_28 Depth=2
	s_or_b64 exec, exec, s[88:89]
	v_mov_b32_e32 v2, 0
	s_and_saveexec_b64 s[18:19], s[8:9]
	s_cbranch_execz .LBB8_244
; %bb.241:                              ;   in Loop: Header=BB8_28 Depth=2
	s_mov_b64 s[30:31], 0
	v_mov_b32_e32 v2, 0
	v_pk_mov_b32 v[22:23], v[8:9], v[8:9] op_sel:[0,1]
	v_mov_b32_e32 v15, v0
.LBB8_242:                              ;   Parent Loop BB8_17 Depth=1
                                        ;     Parent Loop BB8_28 Depth=2
                                        ; =>    This Inner Loop Header: Depth=3
	global_load_dword v24, v[22:23], off
	v_add_u32_e32 v15, 0x100, v15
	v_add_co_u32_e32 v22, vcc, 0x400, v22
	v_cmp_lt_i32_e64 s[16:17], s72, v15
	v_addc_co_u32_e32 v23, vcc, 0, v23, vcc
	s_or_b64 s[30:31], s[16:17], s[30:31]
	s_waitcnt vmcnt(0)
	v_fmac_f32_e32 v2, v24, v24
	s_andn2_b64 exec, exec, s[30:31]
	s_cbranch_execnz .LBB8_242
; %bb.243:                              ;   in Loop: Header=BB8_28 Depth=2
	s_or_b64 exec, exec, s[30:31]
.LBB8_244:                              ;   in Loop: Header=BB8_28 Depth=2
	s_or_b64 exec, exec, s[18:19]
	ds_write_b32 v31, v2 offset:1024
	s_waitcnt lgkmcnt(0)
	s_barrier
	s_and_saveexec_b64 s[16:17], s[2:3]
	s_cbranch_execz .LBB8_246
; %bb.245:                              ;   in Loop: Header=BB8_28 Depth=2
	ds_read_b32 v15, v31 offset:1536
	s_waitcnt lgkmcnt(0)
	v_add_f32_e32 v2, v2, v15
.LBB8_246:                              ;   in Loop: Header=BB8_28 Depth=2
	s_or_b64 exec, exec, s[16:17]
	s_barrier
	s_and_saveexec_b64 s[16:17], s[2:3]
	s_cbranch_execz .LBB8_248
; %bb.247:                              ;   in Loop: Header=BB8_28 Depth=2
	ds_write_b32 v31, v2 offset:1024
.LBB8_248:                              ;   in Loop: Header=BB8_28 Depth=2
	s_or_b64 exec, exec, s[16:17]
	s_waitcnt lgkmcnt(0)
	s_barrier
	s_and_saveexec_b64 s[16:17], s[4:5]
	s_cbranch_execz .LBB8_250
; %bb.249:                              ;   in Loop: Header=BB8_28 Depth=2
	ds_read2st64_b32 v[22:23], v31 offset0:4 offset1:5
	v_add_u32_e32 v2, 0x400, v31
	s_waitcnt lgkmcnt(0)
	v_add_f32_e32 v15, v22, v23
	ds_write_b32 v31, v15 offset:1024
	s_waitcnt vmcnt(0) lgkmcnt(0)
	buffer_wbinvl1_vol
	ds_read2_b32 v[22:23], v2 offset1:32
	s_waitcnt lgkmcnt(0)
	v_add_f32_e32 v15, v22, v23
	ds_write_b32 v31, v15 offset:1024
	s_waitcnt lgkmcnt(0)
	buffer_wbinvl1_vol
	ds_read2_b32 v[22:23], v2 offset1:16
	s_waitcnt lgkmcnt(0)
	v_add_f32_e32 v15, v22, v23
	ds_write_b32 v31, v15 offset:1024
	s_waitcnt lgkmcnt(0)
	;; [unrolled: 6-line block ×6, first 2 shown]
	buffer_wbinvl1_vol
.LBB8_250:                              ;   in Loop: Header=BB8_28 Depth=2
	s_or_b64 exec, exec, s[16:17]
	s_and_saveexec_b64 s[18:19], s[0:1]
	s_cbranch_execz .LBB8_252
; %bb.251:                              ;   in Loop: Header=BB8_28 Depth=2
	ds_read_b32 v2, v37 offset:1024
	s_mov_b32 s16, 0xf800000
	s_waitcnt lgkmcnt(0)
	v_mul_f32_e32 v15, 0x4f800000, v2
	v_cmp_gt_f32_e32 vcc, s16, v2
	v_cndmask_b32_e32 v2, v2, v15, vcc
	v_sqrt_f32_e32 v15, v2
	v_add_u32_e32 v22, -1, v15
	v_add_u32_e32 v23, 1, v15
	v_fma_f32 v24, -v22, v15, v2
	v_fma_f32 v25, -v23, v15, v2
	v_cmp_ge_f32_e64 s[16:17], 0, v24
	v_cndmask_b32_e64 v15, v15, v22, s[16:17]
	v_cmp_lt_f32_e64 s[16:17], 0, v25
	v_cndmask_b32_e64 v15, v15, v23, s[16:17]
	v_mul_f32_e32 v22, 0x37800000, v15
	v_cndmask_b32_e32 v15, v15, v22, vcc
	v_cmp_class_f32_e32 vcc, v2, v34
	v_cndmask_b32_e32 v2, v15, v2, vcc
	ds_write_b32 v37, v2 offset:1024
.LBB8_252:                              ;   in Loop: Header=BB8_28 Depth=2
	s_or_b64 exec, exec, s[18:19]
	s_waitcnt lgkmcnt(0)
	s_barrier
	ds_read2st64_b32 v[22:23], v37 offset0:4 offset1:8
	v_readlane_b32 s16, v52, 22
	v_mov_b32_e32 v2, s16
	v_readlane_b32 s16, v52, 21
	s_waitcnt lgkmcnt(0)
	v_ashrrev_i32_e32 v25, 31, v23
	v_mov_b32_e32 v24, v23
	v_lshlrev_b64 v[24:25], 2, v[24:25]
	v_add_co_u32_e32 v24, vcc, s16, v24
	v_addc_co_u32_e32 v25, vcc, v2, v25, vcc
	global_load_dword v2, v[24:25], off
	s_barrier
	s_and_saveexec_b64 s[16:17], s[8:9]
	s_cbranch_execz .LBB8_262
; %bb.253:                              ;   in Loop: Header=BB8_28 Depth=2
	s_waitcnt vmcnt(0)
	v_cmp_nle_f32_e32 vcc, 0, v2
	v_cndmask_b32_e64 v2, 1.0, -1.0, vcc
	v_div_scale_f32 v15, s[18:19], v22, v22, v2
	v_rcp_f32_e32 v23, v15
	v_div_scale_f32 v24, vcc, v2, v22, v2
	s_mov_b64 s[30:31], -1
	v_fma_f32 v25, -v15, v23, 1.0
	v_fmac_f32_e32 v23, v25, v23
	v_mul_f32_e32 v25, v24, v23
	v_fma_f32 v26, -v15, v25, v24
	v_fmac_f32_e32 v25, v26, v23
	v_fma_f32 v15, -v15, v25, v24
	v_div_fmas_f32 v15, v15, v23, v25
	v_div_fixup_f32 v22, v15, v22, v2
	v_mov_b32_e32 v2, v0
	v_pk_mov_b32 v[24:25], v[6:7], v[6:7] op_sel:[0,1]
	s_and_saveexec_b64 s[18:19], s[12:13]
	s_cbranch_execz .LBB8_259
; %bb.254:                              ;   in Loop: Header=BB8_28 Depth=2
	v_mov_b32_e32 v23, v22
	s_mov_b64 s[30:31], 0
	v_mov_b32_e32 v15, v44
	v_pk_mov_b32 v[24:25], v[0:1], v[0:1] op_sel:[0,1]
.LBB8_255:                              ;   Parent Loop BB8_17 Depth=1
                                        ;     Parent Loop BB8_28 Depth=2
                                        ; =>    This Inner Loop Header: Depth=3
	v_mov_b32_e32 v2, v24
	v_lshlrev_b64 v[26:27], 2, v[2:3]
	v_mov_b32_e32 v45, s21
	v_mov_b32_e32 v2, v25
	v_add_co_u32_e32 v26, vcc, s20, v26
	v_lshlrev_b64 v[28:29], 2, v[2:3]
	v_addc_co_u32_e32 v27, vcc, v45, v27, vcc
	v_add_co_u32_e32 v28, vcc, s20, v28
	v_addc_co_u32_e32 v29, vcc, v45, v29, vcc
	global_load_dword v46, v[26:27], off
	global_load_dword v47, v[28:29], off
	v_add_u32_e32 v15, -2, v15
	v_cmp_eq_u32_e32 vcc, 0, v15
	v_add_u32_e32 v24, 0x200, v24
	v_add_u32_e32 v25, 0x200, v25
	s_or_b64 s[30:31], vcc, s[30:31]
	s_waitcnt vmcnt(0)
	v_pk_mul_f32 v[46:47], v[22:23], v[46:47]
	global_store_dword v[26:27], v46, off
	global_store_dword v[28:29], v47, off
	s_andn2_b64 exec, exec, s[30:31]
	s_cbranch_execnz .LBB8_255
; %bb.256:                              ;   in Loop: Header=BB8_28 Depth=2
	s_or_b64 exec, exec, s[30:31]
	s_mov_b64 s[30:31], 0
                                        ; implicit-def: $vgpr24_vgpr25
	s_and_saveexec_b64 s[34:35], s[14:15]
; %bb.257:                              ;   in Loop: Header=BB8_28 Depth=2
	v_mov_b32_e32 v15, v3
	s_mov_b64 s[30:31], exec
	v_lshlrev_b64 v[24:25], 2, v[14:15]
; %bb.258:                              ;   in Loop: Header=BB8_28 Depth=2
	s_or_b64 exec, exec, s[34:35]
	s_orn2_b64 s[30:31], s[30:31], exec
	v_mov_b32_e32 v2, v14
.LBB8_259:                              ;   in Loop: Header=BB8_28 Depth=2
	s_or_b64 exec, exec, s[18:19]
	s_and_b64 exec, exec, s[30:31]
	s_cbranch_execz .LBB8_262
; %bb.260:                              ;   in Loop: Header=BB8_28 Depth=2
	v_mov_b32_e32 v15, s21
	v_add_co_u32_e32 v24, vcc, s20, v24
	v_addc_co_u32_e32 v25, vcc, v15, v25, vcc
	s_mov_b64 s[18:19], 0
.LBB8_261:                              ;   Parent Loop BB8_17 Depth=1
                                        ;     Parent Loop BB8_28 Depth=2
                                        ; =>    This Inner Loop Header: Depth=3
	global_load_dword v15, v[24:25], off
	v_add_u32_e32 v2, 0x100, v2
	v_cmp_lt_i32_e32 vcc, s72, v2
	s_or_b64 s[18:19], vcc, s[18:19]
	s_waitcnt vmcnt(0)
	v_mul_f32_e32 v15, v22, v15
	global_store_dword v[24:25], v15, off
	v_add_co_u32_e32 v24, vcc, 0x400, v24
	v_addc_co_u32_e32 v25, vcc, 0, v25, vcc
	s_andn2_b64 exec, exec, s[18:19]
	s_cbranch_execnz .LBB8_261
.LBB8_262:                              ;   in Loop: Header=BB8_28 Depth=2
	s_or_b64 exec, exec, s[16:17]
	s_barrier
.LBB8_263:                              ;   in Loop: Header=BB8_28 Depth=2
	s_and_saveexec_b64 s[18:19], s[6:7]
	s_cbranch_execz .LBB8_27
; %bb.264:                              ;   in Loop: Header=BB8_28 Depth=2
	s_mov_b64 s[30:31], 0
	v_pk_mov_b32 v[22:23], v[20:21], v[20:21] op_sel:[0,1]
	s_waitcnt vmcnt(0)
	v_mov_b32_e32 v2, v0
	s_branch .LBB8_266
.LBB8_265:                              ;   in Loop: Header=BB8_266 Depth=3
	s_or_b64 exec, exec, s[16:17]
	v_add_u32_e32 v24, s69, v2
	v_ashrrev_i32_e32 v25, 31, v24
	v_lshlrev_b64 v[24:25], 2, v[24:25]
	v_mov_b32_e32 v26, s49
	v_add_co_u32_e32 v24, vcc, s36, v24
	v_addc_co_u32_e32 v25, vcc, v26, v25, vcc
	v_add_u32_e32 v2, 0x100, v2
	v_add_co_u32_e32 v22, vcc, 0x400, v22
	v_cmp_le_i32_e64 s[16:17], s28, v2
	s_or_b64 s[30:31], s[16:17], s[30:31]
	v_addc_co_u32_e32 v23, vcc, 0, v23, vcc
	s_waitcnt vmcnt(0)
	global_store_dword v[24:25], v15, off
	s_andn2_b64 exec, exec, s[30:31]
	s_cbranch_execz .LBB8_27
.LBB8_266:                              ;   Parent Loop BB8_17 Depth=1
                                        ;     Parent Loop BB8_28 Depth=2
                                        ; =>    This Inner Loop Header: Depth=3
	v_cmp_le_i32_e32 vcc, s68, v2
	v_cmp_gt_i32_e64 s[16:17], s70, v2
	s_and_b64 s[34:35], vcc, s[16:17]
	v_mov_b32_e32 v15, 0
	s_and_saveexec_b64 s[16:17], s[34:35]
	s_cbranch_execz .LBB8_265
; %bb.267:                              ;   in Loop: Header=BB8_266 Depth=3
	global_load_dword v15, v[22:23], off
	s_branch .LBB8_265
.LBB8_268:
	s_and_saveexec_b64 s[2:3], s[0:1]
	s_cbranch_execz .LBB8_270
; %bb.269:
	v_mov_b32_e32 v0, 0
	ds_read_b32 v1, v0
	v_readlane_b32 s4, v52, 4
	v_readlane_b32 s6, v52, 6
	;; [unrolled: 1-line block ×6, first 2 shown]
	s_mov_b64 s[6:7], s[10:11]
	v_readlane_b32 s1, v52, 1
	s_add_u32 s0, s6, s0
	s_addc_u32 s1, s7, s1
	v_readlane_b32 s5, v52, 5
	v_readlane_b32 s8, v52, 8
	;; [unrolled: 1-line block ×3, first 2 shown]
	s_waitcnt lgkmcnt(0)
	global_store_dword v0, v1, s[0:1]
.LBB8_270:
	s_endpgm
	.section	.rodata,"a",@progbits
	.p2align	6, 0x0
	.amdhsa_kernel _ZN9rocsolver6v33100L12stein_kernelIffPfEEviPT0_lS4_lPiS4_lS5_lS5_lT1_iilS5_lS5_S4_S5_S3_S3_
		.amdhsa_group_segment_fixed_size 8
		.amdhsa_private_segment_fixed_size 0
		.amdhsa_kernarg_size 168
		.amdhsa_user_sgpr_count 6
		.amdhsa_user_sgpr_private_segment_buffer 1
		.amdhsa_user_sgpr_dispatch_ptr 0
		.amdhsa_user_sgpr_queue_ptr 0
		.amdhsa_user_sgpr_kernarg_segment_ptr 1
		.amdhsa_user_sgpr_dispatch_id 0
		.amdhsa_user_sgpr_flat_scratch_init 0
		.amdhsa_user_sgpr_kernarg_preload_length 0
		.amdhsa_user_sgpr_kernarg_preload_offset 0
		.amdhsa_user_sgpr_private_segment_size 0
		.amdhsa_uses_dynamic_stack 0
		.amdhsa_system_sgpr_private_segment_wavefront_offset 0
		.amdhsa_system_sgpr_workgroup_id_x 1
		.amdhsa_system_sgpr_workgroup_id_y 1
		.amdhsa_system_sgpr_workgroup_id_z 0
		.amdhsa_system_sgpr_workgroup_info 0
		.amdhsa_system_vgpr_workitem_id 0
		.amdhsa_next_free_vgpr 53
		.amdhsa_next_free_sgpr 96
		.amdhsa_accum_offset 56
		.amdhsa_reserve_vcc 1
		.amdhsa_reserve_flat_scratch 0
		.amdhsa_float_round_mode_32 0
		.amdhsa_float_round_mode_16_64 0
		.amdhsa_float_denorm_mode_32 3
		.amdhsa_float_denorm_mode_16_64 3
		.amdhsa_dx10_clamp 1
		.amdhsa_ieee_mode 1
		.amdhsa_fp16_overflow 0
		.amdhsa_tg_split 0
		.amdhsa_exception_fp_ieee_invalid_op 0
		.amdhsa_exception_fp_denorm_src 0
		.amdhsa_exception_fp_ieee_div_zero 0
		.amdhsa_exception_fp_ieee_overflow 0
		.amdhsa_exception_fp_ieee_underflow 0
		.amdhsa_exception_fp_ieee_inexact 0
		.amdhsa_exception_int_div_zero 0
	.end_amdhsa_kernel
	.section	.text._ZN9rocsolver6v33100L12stein_kernelIffPfEEviPT0_lS4_lPiS4_lS5_lS5_lT1_iilS5_lS5_S4_S5_S3_S3_,"axG",@progbits,_ZN9rocsolver6v33100L12stein_kernelIffPfEEviPT0_lS4_lPiS4_lS5_lS5_lT1_iilS5_lS5_S4_S5_S3_S3_,comdat
.Lfunc_end8:
	.size	_ZN9rocsolver6v33100L12stein_kernelIffPfEEviPT0_lS4_lPiS4_lS5_lS5_lT1_iilS5_lS5_S4_S5_S3_S3_, .Lfunc_end8-_ZN9rocsolver6v33100L12stein_kernelIffPfEEviPT0_lS4_lPiS4_lS5_lS5_lT1_iilS5_lS5_S4_S5_S3_S3_
                                        ; -- End function
	.section	.AMDGPU.csdata,"",@progbits
; Kernel info:
; codeLenInByte = 10912
; NumSgprs: 100
; NumVgprs: 53
; NumAgprs: 0
; TotalNumVgprs: 53
; ScratchSize: 0
; MemoryBound: 0
; FloatMode: 240
; IeeeMode: 1
; LDSByteSize: 8 bytes/workgroup (compile time only)
; SGPRBlocks: 12
; VGPRBlocks: 6
; NumSGPRsForWavesPerEU: 100
; NumVGPRsForWavesPerEU: 53
; AccumOffset: 56
; Occupancy: 8
; WaveLimiterHint : 1
; COMPUTE_PGM_RSRC2:SCRATCH_EN: 0
; COMPUTE_PGM_RSRC2:USER_SGPR: 6
; COMPUTE_PGM_RSRC2:TRAP_HANDLER: 0
; COMPUTE_PGM_RSRC2:TGID_X_EN: 1
; COMPUTE_PGM_RSRC2:TGID_Y_EN: 1
; COMPUTE_PGM_RSRC2:TGID_Z_EN: 0
; COMPUTE_PGM_RSRC2:TIDIG_COMP_CNT: 0
; COMPUTE_PGM_RSRC3_GFX90A:ACCUM_OFFSET: 13
; COMPUTE_PGM_RSRC3_GFX90A:TG_SPLIT: 0
	.text
	.p2align	2                               ; -- Begin function __ockl_fprintf_append_string_n
	.type	__ockl_fprintf_append_string_n,@function
__ockl_fprintf_append_string_n:         ; @__ockl_fprintf_append_string_n
; %bb.0:
	s_waitcnt vmcnt(0) expcnt(0) lgkmcnt(0)
	v_mov_b32_e32 v9, v3
	v_mov_b32_e32 v8, v2
	v_or_b32_e32 v2, 2, v0
	v_cmp_eq_u32_e32 vcc, 0, v6
	s_mov_b32 s22, 0
	v_cndmask_b32_e32 v0, v2, v0, vcc
	s_mov_b64 s[6:7], 0
	v_cmp_ne_u64_e32 vcc, 0, v[8:9]
	v_mbcnt_lo_u32_b32 v2, -1, 0
	s_and_saveexec_b64 s[4:5], vcc
	s_xor_b64 s[10:11], exec, s[4:5]
	s_cbranch_execz .LBB9_86
; %bb.1:
	s_load_dwordx2 s[12:13], s[8:9], 0x50
	v_and_b32_e32 v6, 2, v0
	v_mov_b32_e32 v31, 0
	v_and_b32_e32 v0, -3, v0
	v_mbcnt_hi_u32_b32 v32, -1, v2
	s_movk_i32 s23, 0xff1f
	v_mov_b32_e32 v12, 2
	v_mov_b32_e32 v13, 1
	s_branch .LBB9_3
.LBB9_2:                                ;   in Loop: Header=BB9_3 Depth=1
	s_or_b64 exec, exec, s[16:17]
	v_sub_co_u32_e32 v4, vcc, v4, v34
	v_subb_co_u32_e32 v5, vcc, v5, v35, vcc
	v_cmp_eq_u64_e32 vcc, 0, v[4:5]
	s_or_b64 s[6:7], vcc, s[6:7]
	v_add_co_u32_e32 v8, vcc, v8, v34
	v_addc_co_u32_e32 v9, vcc, v9, v35, vcc
	s_andn2_b64 exec, exec, s[6:7]
	s_cbranch_execz .LBB9_85
.LBB9_3:                                ; =>This Loop Header: Depth=1
                                        ;     Child Loop BB9_6 Depth 2
                                        ;     Child Loop BB9_14 Depth 2
	;; [unrolled: 1-line block ×11, first 2 shown]
	v_cmp_gt_u64_e32 vcc, 56, v[4:5]
	v_cndmask_b32_e32 v35, 0, v5, vcc
	v_cndmask_b32_e32 v34, 56, v4, vcc
	v_cmp_gt_u64_e32 vcc, 8, v[4:5]
                                        ; implicit-def: $vgpr2_vgpr3
                                        ; implicit-def: $sgpr14
	s_and_saveexec_b64 s[4:5], vcc
	s_xor_b64 s[4:5], exec, s[4:5]
	s_cbranch_execz .LBB9_9
; %bb.4:                                ;   in Loop: Header=BB9_3 Depth=1
	s_mov_b64 s[16:17], 0
	v_cmp_ne_u64_e32 vcc, 0, v[4:5]
	s_waitcnt vmcnt(0)
	v_pk_mov_b32 v[2:3], 0, 0
	s_and_saveexec_b64 s[14:15], vcc
	s_cbranch_execz .LBB9_8
; %bb.5:                                ;   in Loop: Header=BB9_3 Depth=1
	v_lshlrev_b64 v[10:11], 3, v[34:35]
	v_pk_mov_b32 v[2:3], 0, 0
	v_pk_mov_b32 v[14:15], v[8:9], v[8:9] op_sel:[0,1]
	s_mov_b64 s[18:19], 0
.LBB9_6:                                ;   Parent Loop BB9_3 Depth=1
                                        ; =>  This Inner Loop Header: Depth=2
	flat_load_ubyte v7, v[14:15]
	v_mov_b32_e32 v17, s22
	v_add_co_u32_e32 v14, vcc, 1, v14
	v_addc_co_u32_e32 v15, vcc, 0, v15, vcc
	s_waitcnt vmcnt(0) lgkmcnt(0)
	v_and_b32_e32 v16, 0xffff, v7
	v_lshlrev_b64 v[16:17], s18, v[16:17]
	s_add_u32 s18, s18, 8
	s_addc_u32 s19, s19, 0
	v_cmp_eq_u32_e32 vcc, s18, v10
	v_or_b32_e32 v3, v17, v3
	s_or_b64 s[16:17], vcc, s[16:17]
	v_or_b32_e32 v2, v16, v2
	s_andn2_b64 exec, exec, s[16:17]
	s_cbranch_execnz .LBB9_6
; %bb.7:                                ;   in Loop: Header=BB9_3 Depth=1
	s_or_b64 exec, exec, s[16:17]
.LBB9_8:                                ;   in Loop: Header=BB9_3 Depth=1
	s_or_b64 exec, exec, s[14:15]
	s_mov_b32 s14, 0
.LBB9_9:                                ;   in Loop: Header=BB9_3 Depth=1
	s_or_saveexec_b64 s[4:5], s[4:5]
	v_mov_b32_e32 v7, s14
	v_pk_mov_b32 v[10:11], v[8:9], v[8:9] op_sel:[0,1]
	s_xor_b64 exec, exec, s[4:5]
	s_cbranch_execz .LBB9_11
; %bb.10:                               ;   in Loop: Header=BB9_3 Depth=1
	s_waitcnt vmcnt(0)
	flat_load_dwordx2 v[2:3], v[8:9]
	v_add_u32_e32 v7, -8, v34
	s_waitcnt vmcnt(0) lgkmcnt(0)
	v_and_b32_e32 v10, 0xff, v3
	v_and_b32_e32 v11, 0xff00, v3
	;; [unrolled: 1-line block ×4, first 2 shown]
	v_or_b32_e32 v10, v10, v11
	v_or3_b32 v3, v10, v14, v3
	v_add_co_u32_e32 v10, vcc, 8, v8
	v_or3_b32 v2, v2, 0, 0
	v_addc_co_u32_e32 v11, vcc, 0, v9, vcc
.LBB9_11:                               ;   in Loop: Header=BB9_3 Depth=1
	s_or_b64 exec, exec, s[4:5]
	v_cmp_gt_u32_e32 vcc, 8, v7
                                        ; implicit-def: $vgpr14_vgpr15
                                        ; implicit-def: $sgpr14
	s_and_saveexec_b64 s[4:5], vcc
	s_xor_b64 s[4:5], exec, s[4:5]
	s_cbranch_execz .LBB9_17
; %bb.12:                               ;   in Loop: Header=BB9_3 Depth=1
	v_cmp_ne_u32_e32 vcc, 0, v7
	v_pk_mov_b32 v[14:15], 0, 0
	s_and_saveexec_b64 s[14:15], vcc
	s_cbranch_execz .LBB9_16
; %bb.13:                               ;   in Loop: Header=BB9_3 Depth=1
	s_mov_b64 s[16:17], 0
	v_pk_mov_b32 v[14:15], 0, 0
	s_mov_b64 s[18:19], 0
	s_mov_b64 s[20:21], 0
.LBB9_14:                               ;   Parent Loop BB9_3 Depth=1
                                        ; =>  This Inner Loop Header: Depth=2
	v_mov_b32_e32 v17, s21
	v_add_co_u32_e32 v16, vcc, s20, v10
	v_addc_co_u32_e32 v17, vcc, v11, v17, vcc
	flat_load_ubyte v16, v[16:17]
	s_add_u32 s20, s20, 1
	v_mov_b32_e32 v17, s22
	s_addc_u32 s21, s21, 0
	v_cmp_eq_u32_e32 vcc, s20, v7
	s_waitcnt vmcnt(0) lgkmcnt(0)
	v_and_b32_e32 v16, 0xffff, v16
	v_lshlrev_b64 v[16:17], s18, v[16:17]
	s_add_u32 s18, s18, 8
	s_addc_u32 s19, s19, 0
	v_or_b32_e32 v15, v17, v15
	s_or_b64 s[16:17], vcc, s[16:17]
	v_or_b32_e32 v14, v16, v14
	s_andn2_b64 exec, exec, s[16:17]
	s_cbranch_execnz .LBB9_14
; %bb.15:                               ;   in Loop: Header=BB9_3 Depth=1
	s_or_b64 exec, exec, s[16:17]
.LBB9_16:                               ;   in Loop: Header=BB9_3 Depth=1
	s_or_b64 exec, exec, s[14:15]
	s_mov_b32 s14, 0
                                        ; implicit-def: $vgpr7
.LBB9_17:                               ;   in Loop: Header=BB9_3 Depth=1
	s_or_saveexec_b64 s[4:5], s[4:5]
	v_mov_b32_e32 v18, s14
	s_xor_b64 exec, exec, s[4:5]
	s_cbranch_execz .LBB9_19
; %bb.18:                               ;   in Loop: Header=BB9_3 Depth=1
	flat_load_dwordx2 v[14:15], v[10:11]
	v_add_u32_e32 v18, -8, v7
	v_add_co_u32_e32 v10, vcc, 8, v10
	v_addc_co_u32_e32 v11, vcc, 0, v11, vcc
	s_waitcnt vmcnt(0) lgkmcnt(0)
	v_and_b32_e32 v7, 0xff, v15
	v_and_b32_e32 v16, 0xff00, v15
	;; [unrolled: 1-line block ×4, first 2 shown]
	v_or_b32_e32 v7, v7, v16
	v_or3_b32 v14, v14, 0, 0
	v_or3_b32 v15, v7, v17, v15
.LBB9_19:                               ;   in Loop: Header=BB9_3 Depth=1
	s_or_b64 exec, exec, s[4:5]
	v_cmp_gt_u32_e32 vcc, 8, v18
                                        ; implicit-def: $sgpr14
	s_and_saveexec_b64 s[4:5], vcc
	s_xor_b64 s[4:5], exec, s[4:5]
	s_cbranch_execz .LBB9_25
; %bb.20:                               ;   in Loop: Header=BB9_3 Depth=1
	v_cmp_ne_u32_e32 vcc, 0, v18
	v_pk_mov_b32 v[16:17], 0, 0
	s_and_saveexec_b64 s[14:15], vcc
	s_cbranch_execz .LBB9_24
; %bb.21:                               ;   in Loop: Header=BB9_3 Depth=1
	s_mov_b64 s[16:17], 0
	v_pk_mov_b32 v[16:17], 0, 0
	s_mov_b64 s[18:19], 0
	s_mov_b64 s[20:21], 0
.LBB9_22:                               ;   Parent Loop BB9_3 Depth=1
                                        ; =>  This Inner Loop Header: Depth=2
	v_mov_b32_e32 v7, s21
	v_add_co_u32_e32 v20, vcc, s20, v10
	v_addc_co_u32_e32 v21, vcc, v11, v7, vcc
	flat_load_ubyte v7, v[20:21]
	s_add_u32 s20, s20, 1
	v_mov_b32_e32 v21, s22
	s_addc_u32 s21, s21, 0
	v_cmp_eq_u32_e32 vcc, s20, v18
	s_waitcnt vmcnt(0) lgkmcnt(0)
	v_and_b32_e32 v20, 0xffff, v7
	v_lshlrev_b64 v[20:21], s18, v[20:21]
	s_add_u32 s18, s18, 8
	s_addc_u32 s19, s19, 0
	v_or_b32_e32 v17, v21, v17
	s_or_b64 s[16:17], vcc, s[16:17]
	v_or_b32_e32 v16, v20, v16
	s_andn2_b64 exec, exec, s[16:17]
	s_cbranch_execnz .LBB9_22
; %bb.23:                               ;   in Loop: Header=BB9_3 Depth=1
	s_or_b64 exec, exec, s[16:17]
.LBB9_24:                               ;   in Loop: Header=BB9_3 Depth=1
	s_or_b64 exec, exec, s[14:15]
	s_mov_b32 s14, 0
                                        ; implicit-def: $vgpr18
.LBB9_25:                               ;   in Loop: Header=BB9_3 Depth=1
	s_or_saveexec_b64 s[4:5], s[4:5]
	v_mov_b32_e32 v7, s14
	s_xor_b64 exec, exec, s[4:5]
	s_cbranch_execz .LBB9_27
; %bb.26:                               ;   in Loop: Header=BB9_3 Depth=1
	flat_load_dwordx2 v[16:17], v[10:11]
	v_add_u32_e32 v7, -8, v18
	v_add_co_u32_e32 v10, vcc, 8, v10
	v_addc_co_u32_e32 v11, vcc, 0, v11, vcc
	s_waitcnt vmcnt(0) lgkmcnt(0)
	v_and_b32_e32 v18, 0xff, v17
	v_and_b32_e32 v19, 0xff00, v17
	;; [unrolled: 1-line block ×4, first 2 shown]
	v_or_b32_e32 v18, v18, v19
	v_or3_b32 v16, v16, 0, 0
	v_or3_b32 v17, v18, v20, v17
.LBB9_27:                               ;   in Loop: Header=BB9_3 Depth=1
	s_or_b64 exec, exec, s[4:5]
	v_cmp_gt_u32_e32 vcc, 8, v7
                                        ; implicit-def: $vgpr18_vgpr19
                                        ; implicit-def: $sgpr14
	s_and_saveexec_b64 s[4:5], vcc
	s_xor_b64 s[4:5], exec, s[4:5]
	s_cbranch_execz .LBB9_33
; %bb.28:                               ;   in Loop: Header=BB9_3 Depth=1
	v_cmp_ne_u32_e32 vcc, 0, v7
	v_pk_mov_b32 v[18:19], 0, 0
	s_and_saveexec_b64 s[14:15], vcc
	s_cbranch_execz .LBB9_32
; %bb.29:                               ;   in Loop: Header=BB9_3 Depth=1
	s_mov_b64 s[16:17], 0
	v_pk_mov_b32 v[18:19], 0, 0
	s_mov_b64 s[18:19], 0
	s_mov_b64 s[20:21], 0
.LBB9_30:                               ;   Parent Loop BB9_3 Depth=1
                                        ; =>  This Inner Loop Header: Depth=2
	v_mov_b32_e32 v21, s21
	v_add_co_u32_e32 v20, vcc, s20, v10
	v_addc_co_u32_e32 v21, vcc, v11, v21, vcc
	flat_load_ubyte v20, v[20:21]
	s_add_u32 s20, s20, 1
	v_mov_b32_e32 v21, s22
	s_addc_u32 s21, s21, 0
	v_cmp_eq_u32_e32 vcc, s20, v7
	s_waitcnt vmcnt(0) lgkmcnt(0)
	v_and_b32_e32 v20, 0xffff, v20
	v_lshlrev_b64 v[20:21], s18, v[20:21]
	s_add_u32 s18, s18, 8
	s_addc_u32 s19, s19, 0
	v_or_b32_e32 v19, v21, v19
	s_or_b64 s[16:17], vcc, s[16:17]
	v_or_b32_e32 v18, v20, v18
	s_andn2_b64 exec, exec, s[16:17]
	s_cbranch_execnz .LBB9_30
; %bb.31:                               ;   in Loop: Header=BB9_3 Depth=1
	s_or_b64 exec, exec, s[16:17]
.LBB9_32:                               ;   in Loop: Header=BB9_3 Depth=1
	s_or_b64 exec, exec, s[14:15]
	s_mov_b32 s14, 0
                                        ; implicit-def: $vgpr7
.LBB9_33:                               ;   in Loop: Header=BB9_3 Depth=1
	s_or_saveexec_b64 s[4:5], s[4:5]
	v_mov_b32_e32 v22, s14
	s_xor_b64 exec, exec, s[4:5]
	s_cbranch_execz .LBB9_35
; %bb.34:                               ;   in Loop: Header=BB9_3 Depth=1
	flat_load_dwordx2 v[18:19], v[10:11]
	v_add_u32_e32 v22, -8, v7
	v_add_co_u32_e32 v10, vcc, 8, v10
	v_addc_co_u32_e32 v11, vcc, 0, v11, vcc
	s_waitcnt vmcnt(0) lgkmcnt(0)
	v_and_b32_e32 v7, 0xff, v19
	v_and_b32_e32 v20, 0xff00, v19
	;; [unrolled: 1-line block ×4, first 2 shown]
	v_or_b32_e32 v7, v7, v20
	v_or3_b32 v18, v18, 0, 0
	v_or3_b32 v19, v7, v21, v19
.LBB9_35:                               ;   in Loop: Header=BB9_3 Depth=1
	s_or_b64 exec, exec, s[4:5]
	v_cmp_gt_u32_e32 vcc, 8, v22
                                        ; implicit-def: $sgpr14
	s_and_saveexec_b64 s[4:5], vcc
	s_xor_b64 s[4:5], exec, s[4:5]
	s_cbranch_execz .LBB9_41
; %bb.36:                               ;   in Loop: Header=BB9_3 Depth=1
	v_cmp_ne_u32_e32 vcc, 0, v22
	v_pk_mov_b32 v[20:21], 0, 0
	s_and_saveexec_b64 s[14:15], vcc
	s_cbranch_execz .LBB9_40
; %bb.37:                               ;   in Loop: Header=BB9_3 Depth=1
	s_mov_b64 s[16:17], 0
	v_pk_mov_b32 v[20:21], 0, 0
	s_mov_b64 s[18:19], 0
	s_mov_b64 s[20:21], 0
.LBB9_38:                               ;   Parent Loop BB9_3 Depth=1
                                        ; =>  This Inner Loop Header: Depth=2
	v_mov_b32_e32 v7, s21
	v_add_co_u32_e32 v24, vcc, s20, v10
	v_addc_co_u32_e32 v25, vcc, v11, v7, vcc
	flat_load_ubyte v7, v[24:25]
	s_add_u32 s20, s20, 1
	v_mov_b32_e32 v25, s22
	s_addc_u32 s21, s21, 0
	v_cmp_eq_u32_e32 vcc, s20, v22
	s_waitcnt vmcnt(0) lgkmcnt(0)
	v_and_b32_e32 v24, 0xffff, v7
	v_lshlrev_b64 v[24:25], s18, v[24:25]
	s_add_u32 s18, s18, 8
	s_addc_u32 s19, s19, 0
	v_or_b32_e32 v21, v25, v21
	s_or_b64 s[16:17], vcc, s[16:17]
	v_or_b32_e32 v20, v24, v20
	s_andn2_b64 exec, exec, s[16:17]
	s_cbranch_execnz .LBB9_38
; %bb.39:                               ;   in Loop: Header=BB9_3 Depth=1
	s_or_b64 exec, exec, s[16:17]
.LBB9_40:                               ;   in Loop: Header=BB9_3 Depth=1
	s_or_b64 exec, exec, s[14:15]
	s_mov_b32 s14, 0
                                        ; implicit-def: $vgpr22
.LBB9_41:                               ;   in Loop: Header=BB9_3 Depth=1
	s_or_saveexec_b64 s[4:5], s[4:5]
	v_mov_b32_e32 v7, s14
	s_xor_b64 exec, exec, s[4:5]
	s_cbranch_execz .LBB9_43
; %bb.42:                               ;   in Loop: Header=BB9_3 Depth=1
	flat_load_dwordx2 v[20:21], v[10:11]
	v_add_u32_e32 v7, -8, v22
	v_add_co_u32_e32 v10, vcc, 8, v10
	v_addc_co_u32_e32 v11, vcc, 0, v11, vcc
	s_waitcnt vmcnt(0) lgkmcnt(0)
	v_and_b32_e32 v22, 0xff, v21
	v_and_b32_e32 v23, 0xff00, v21
	;; [unrolled: 1-line block ×4, first 2 shown]
	v_or_b32_e32 v22, v22, v23
	v_or3_b32 v20, v20, 0, 0
	v_or3_b32 v21, v22, v24, v21
.LBB9_43:                               ;   in Loop: Header=BB9_3 Depth=1
	s_or_b64 exec, exec, s[4:5]
	v_cmp_gt_u32_e32 vcc, 8, v7
                                        ; implicit-def: $vgpr22_vgpr23
                                        ; implicit-def: $sgpr14
	s_and_saveexec_b64 s[4:5], vcc
	s_xor_b64 s[4:5], exec, s[4:5]
	s_cbranch_execz .LBB9_49
; %bb.44:                               ;   in Loop: Header=BB9_3 Depth=1
	v_cmp_ne_u32_e32 vcc, 0, v7
	v_pk_mov_b32 v[22:23], 0, 0
	s_and_saveexec_b64 s[14:15], vcc
	s_cbranch_execz .LBB9_48
; %bb.45:                               ;   in Loop: Header=BB9_3 Depth=1
	s_mov_b64 s[16:17], 0
	v_pk_mov_b32 v[22:23], 0, 0
	s_mov_b64 s[18:19], 0
	s_mov_b64 s[20:21], 0
.LBB9_46:                               ;   Parent Loop BB9_3 Depth=1
                                        ; =>  This Inner Loop Header: Depth=2
	v_mov_b32_e32 v25, s21
	v_add_co_u32_e32 v24, vcc, s20, v10
	v_addc_co_u32_e32 v25, vcc, v11, v25, vcc
	flat_load_ubyte v24, v[24:25]
	s_add_u32 s20, s20, 1
	v_mov_b32_e32 v25, s22
	s_addc_u32 s21, s21, 0
	v_cmp_eq_u32_e32 vcc, s20, v7
	s_waitcnt vmcnt(0) lgkmcnt(0)
	v_and_b32_e32 v24, 0xffff, v24
	v_lshlrev_b64 v[24:25], s18, v[24:25]
	s_add_u32 s18, s18, 8
	s_addc_u32 s19, s19, 0
	v_or_b32_e32 v23, v25, v23
	s_or_b64 s[16:17], vcc, s[16:17]
	v_or_b32_e32 v22, v24, v22
	s_andn2_b64 exec, exec, s[16:17]
	s_cbranch_execnz .LBB9_46
; %bb.47:                               ;   in Loop: Header=BB9_3 Depth=1
	s_or_b64 exec, exec, s[16:17]
.LBB9_48:                               ;   in Loop: Header=BB9_3 Depth=1
	s_or_b64 exec, exec, s[14:15]
	s_mov_b32 s14, 0
                                        ; implicit-def: $vgpr7
.LBB9_49:                               ;   in Loop: Header=BB9_3 Depth=1
	s_or_saveexec_b64 s[4:5], s[4:5]
	v_mov_b32_e32 v26, s14
	s_xor_b64 exec, exec, s[4:5]
	s_cbranch_execz .LBB9_51
; %bb.50:                               ;   in Loop: Header=BB9_3 Depth=1
	flat_load_dwordx2 v[22:23], v[10:11]
	v_add_u32_e32 v26, -8, v7
	v_add_co_u32_e32 v10, vcc, 8, v10
	v_addc_co_u32_e32 v11, vcc, 0, v11, vcc
	s_waitcnt vmcnt(0) lgkmcnt(0)
	v_and_b32_e32 v7, 0xff, v23
	v_and_b32_e32 v24, 0xff00, v23
	;; [unrolled: 1-line block ×4, first 2 shown]
	v_or_b32_e32 v7, v7, v24
	v_or3_b32 v22, v22, 0, 0
	v_or3_b32 v23, v7, v25, v23
.LBB9_51:                               ;   in Loop: Header=BB9_3 Depth=1
	s_or_b64 exec, exec, s[4:5]
	v_cmp_gt_u32_e32 vcc, 8, v26
	s_and_saveexec_b64 s[4:5], vcc
	s_xor_b64 s[4:5], exec, s[4:5]
	s_cbranch_execz .LBB9_57
; %bb.52:                               ;   in Loop: Header=BB9_3 Depth=1
	v_cmp_ne_u32_e32 vcc, 0, v26
	v_pk_mov_b32 v[24:25], 0, 0
	s_and_saveexec_b64 s[14:15], vcc
	s_cbranch_execz .LBB9_56
; %bb.53:                               ;   in Loop: Header=BB9_3 Depth=1
	s_mov_b64 s[16:17], 0
	v_pk_mov_b32 v[24:25], 0, 0
	s_mov_b64 s[18:19], 0
.LBB9_54:                               ;   Parent Loop BB9_3 Depth=1
                                        ; =>  This Inner Loop Header: Depth=2
	flat_load_ubyte v7, v[10:11]
	v_mov_b32_e32 v29, s22
	v_add_co_u32_e32 v10, vcc, 1, v10
	v_add_u32_e32 v26, -1, v26
	v_addc_co_u32_e32 v11, vcc, 0, v11, vcc
	v_cmp_eq_u32_e32 vcc, 0, v26
	s_waitcnt vmcnt(0) lgkmcnt(0)
	v_and_b32_e32 v28, 0xffff, v7
	v_lshlrev_b64 v[28:29], s18, v[28:29]
	s_add_u32 s18, s18, 8
	s_addc_u32 s19, s19, 0
	v_or_b32_e32 v25, v29, v25
	s_or_b64 s[16:17], vcc, s[16:17]
	v_or_b32_e32 v24, v28, v24
	s_andn2_b64 exec, exec, s[16:17]
	s_cbranch_execnz .LBB9_54
; %bb.55:                               ;   in Loop: Header=BB9_3 Depth=1
	s_or_b64 exec, exec, s[16:17]
.LBB9_56:                               ;   in Loop: Header=BB9_3 Depth=1
	s_or_b64 exec, exec, s[14:15]
                                        ; implicit-def: $vgpr10_vgpr11
.LBB9_57:                               ;   in Loop: Header=BB9_3 Depth=1
	s_andn2_saveexec_b64 s[4:5], s[4:5]
	s_cbranch_execz .LBB9_59
; %bb.58:                               ;   in Loop: Header=BB9_3 Depth=1
	flat_load_dwordx2 v[10:11], v[10:11]
	s_waitcnt vmcnt(0) lgkmcnt(0)
	v_and_b32_e32 v7, 0xff, v11
	v_and_b32_e32 v24, 0xff00, v11
	;; [unrolled: 1-line block ×4, first 2 shown]
	v_or_b32_e32 v7, v7, v24
	v_or3_b32 v25, v7, v25, v11
	v_or3_b32 v24, v10, 0, 0
.LBB9_59:                               ;   in Loop: Header=BB9_3 Depth=1
	s_or_b64 exec, exec, s[4:5]
	v_readfirstlane_b32 s4, v32
	v_cmp_eq_u32_e64 s[4:5], s4, v32
	v_pk_mov_b32 v[10:11], 0, 0
	s_and_saveexec_b64 s[14:15], s[4:5]
	s_cbranch_execz .LBB9_65
; %bb.60:                               ;   in Loop: Header=BB9_3 Depth=1
	s_waitcnt lgkmcnt(0)
	global_load_dwordx2 v[28:29], v31, s[12:13] offset:24 glc
	s_waitcnt vmcnt(0)
	buffer_invl2
	buffer_wbinvl1_vol
	global_load_dwordx2 v[10:11], v31, s[12:13] offset:40
	global_load_dwordx2 v[26:27], v31, s[12:13]
	s_waitcnt vmcnt(1)
	v_and_b32_e32 v7, v10, v28
	v_and_b32_e32 v10, v11, v29
	v_mul_lo_u32 v10, v10, 24
	v_mul_hi_u32 v11, v7, 24
	v_mul_lo_u32 v7, v7, 24
	v_add_u32_e32 v11, v11, v10
	s_waitcnt vmcnt(0)
	v_add_co_u32_e32 v10, vcc, v26, v7
	v_addc_co_u32_e32 v11, vcc, v27, v11, vcc
	global_load_dwordx2 v[26:27], v[10:11], off glc
	s_waitcnt vmcnt(0)
	global_atomic_cmpswap_x2 v[10:11], v31, v[26:29], s[12:13] offset:24 glc
	s_waitcnt vmcnt(0)
	buffer_invl2
	buffer_wbinvl1_vol
	v_cmp_ne_u64_e32 vcc, v[10:11], v[28:29]
	s_and_saveexec_b64 s[16:17], vcc
	s_cbranch_execz .LBB9_64
; %bb.61:                               ;   in Loop: Header=BB9_3 Depth=1
	s_mov_b64 s[18:19], 0
.LBB9_62:                               ;   Parent Loop BB9_3 Depth=1
                                        ; =>  This Inner Loop Header: Depth=2
	s_sleep 1
	global_load_dwordx2 v[26:27], v31, s[12:13] offset:40
	global_load_dwordx2 v[36:37], v31, s[12:13]
	v_pk_mov_b32 v[28:29], v[10:11], v[10:11] op_sel:[0,1]
	s_waitcnt vmcnt(1)
	v_and_b32_e32 v10, v26, v28
	s_waitcnt vmcnt(0)
	v_mad_u64_u32 v[10:11], s[20:21], v10, 24, v[36:37]
	v_and_b32_e32 v7, v27, v29
	v_mov_b32_e32 v26, v11
	v_mad_u64_u32 v[26:27], s[20:21], v7, 24, v[26:27]
	v_mov_b32_e32 v11, v26
	global_load_dwordx2 v[26:27], v[10:11], off glc
	s_waitcnt vmcnt(0)
	global_atomic_cmpswap_x2 v[10:11], v31, v[26:29], s[12:13] offset:24 glc
	s_waitcnt vmcnt(0)
	buffer_invl2
	buffer_wbinvl1_vol
	v_cmp_eq_u64_e32 vcc, v[10:11], v[28:29]
	s_or_b64 s[18:19], vcc, s[18:19]
	s_andn2_b64 exec, exec, s[18:19]
	s_cbranch_execnz .LBB9_62
; %bb.63:                               ;   in Loop: Header=BB9_3 Depth=1
	s_or_b64 exec, exec, s[18:19]
.LBB9_64:                               ;   in Loop: Header=BB9_3 Depth=1
	s_or_b64 exec, exec, s[16:17]
.LBB9_65:                               ;   in Loop: Header=BB9_3 Depth=1
	s_or_b64 exec, exec, s[14:15]
	s_waitcnt lgkmcnt(0)
	global_load_dwordx2 v[36:37], v31, s[12:13] offset:40
	global_load_dwordx4 v[26:29], v31, s[12:13]
	v_readfirstlane_b32 s14, v10
	v_readfirstlane_b32 s15, v11
	s_mov_b64 s[16:17], exec
	s_waitcnt vmcnt(1)
	v_readfirstlane_b32 s18, v36
	v_readfirstlane_b32 s19, v37
	s_and_b64 s[18:19], s[14:15], s[18:19]
	s_mul_i32 s20, s19, 24
	s_mul_hi_u32 s21, s18, 24
	s_mul_i32 s24, s18, 24
	s_add_i32 s20, s21, s20
	v_mov_b32_e32 v7, s20
	s_waitcnt vmcnt(0)
	v_add_co_u32_e32 v36, vcc, s24, v26
	v_addc_co_u32_e32 v37, vcc, v27, v7, vcc
	s_and_saveexec_b64 s[20:21], s[4:5]
	s_cbranch_execz .LBB9_67
; %bb.66:                               ;   in Loop: Header=BB9_3 Depth=1
	v_pk_mov_b32 v[10:11], s[16:17], s[16:17] op_sel:[0,1]
	global_store_dwordx4 v[36:37], v[10:13], off offset:8
.LBB9_67:                               ;   in Loop: Header=BB9_3 Depth=1
	s_or_b64 exec, exec, s[20:21]
	s_lshl_b64 s[16:17], s[18:19], 12
	v_mov_b32_e32 v7, s17
	v_add_co_u32_e32 v10, vcc, s16, v28
	v_addc_co_u32_e32 v7, vcc, v29, v7, vcc
	v_or_b32_e32 v11, 0, v1
	v_cmp_lt_u64_e32 vcc, 56, v[4:5]
	v_or_b32_e32 v28, v0, v6
	v_cndmask_b32_e32 v1, v11, v1, vcc
	v_lshl_add_u32 v11, v34, 2, 28
	v_cndmask_b32_e32 v0, v28, v0, vcc
	v_and_b32_e32 v11, 0x1e0, v11
	v_and_or_b32 v0, v0, s23, v11
	v_lshlrev_b32_e32 v11, 6, v32
	v_readfirstlane_b32 s16, v10
	v_readfirstlane_b32 s17, v7
	s_nop 4
	global_store_dwordx4 v11, v[0:3], s[16:17]
	global_store_dwordx4 v11, v[14:17], s[16:17] offset:16
	global_store_dwordx4 v11, v[18:21], s[16:17] offset:32
	;; [unrolled: 1-line block ×3, first 2 shown]
	s_and_saveexec_b64 s[16:17], s[4:5]
	s_cbranch_execz .LBB9_75
; %bb.68:                               ;   in Loop: Header=BB9_3 Depth=1
	global_load_dwordx2 v[18:19], v31, s[12:13] offset:32 glc
	global_load_dwordx2 v[0:1], v31, s[12:13] offset:40
	v_mov_b32_e32 v16, s14
	v_mov_b32_e32 v17, s15
	s_waitcnt vmcnt(0)
	v_readfirstlane_b32 s18, v0
	v_readfirstlane_b32 s19, v1
	s_and_b64 s[18:19], s[18:19], s[14:15]
	s_mul_i32 s19, s19, 24
	s_mul_hi_u32 s20, s18, 24
	s_mul_i32 s18, s18, 24
	s_add_i32 s19, s20, s19
	v_mov_b32_e32 v0, s19
	v_add_co_u32_e32 v14, vcc, s18, v26
	v_addc_co_u32_e32 v15, vcc, v27, v0, vcc
	global_store_dwordx2 v[14:15], v[18:19], off
	buffer_wbl2
	s_waitcnt vmcnt(0)
	global_atomic_cmpswap_x2 v[2:3], v31, v[16:19], s[12:13] offset:32 glc
	s_waitcnt vmcnt(0)
	v_cmp_ne_u64_e32 vcc, v[2:3], v[18:19]
	s_and_saveexec_b64 s[18:19], vcc
	s_cbranch_execz .LBB9_71
; %bb.69:                               ;   in Loop: Header=BB9_3 Depth=1
	s_mov_b64 s[20:21], 0
.LBB9_70:                               ;   Parent Loop BB9_3 Depth=1
                                        ; =>  This Inner Loop Header: Depth=2
	s_sleep 1
	global_store_dwordx2 v[14:15], v[2:3], off
	v_mov_b32_e32 v0, s14
	v_mov_b32_e32 v1, s15
	buffer_wbl2
	s_waitcnt vmcnt(0)
	global_atomic_cmpswap_x2 v[0:1], v31, v[0:3], s[12:13] offset:32 glc
	s_waitcnt vmcnt(0)
	v_cmp_eq_u64_e32 vcc, v[0:1], v[2:3]
	s_or_b64 s[20:21], vcc, s[20:21]
	v_pk_mov_b32 v[2:3], v[0:1], v[0:1] op_sel:[0,1]
	s_andn2_b64 exec, exec, s[20:21]
	s_cbranch_execnz .LBB9_70
.LBB9_71:                               ;   in Loop: Header=BB9_3 Depth=1
	s_or_b64 exec, exec, s[18:19]
	global_load_dwordx2 v[0:1], v31, s[12:13] offset:16
	s_mov_b64 s[20:21], exec
	v_mbcnt_lo_u32_b32 v2, s20, 0
	v_mbcnt_hi_u32_b32 v2, s21, v2
	v_cmp_eq_u32_e32 vcc, 0, v2
	s_and_saveexec_b64 s[18:19], vcc
	s_cbranch_execz .LBB9_73
; %bb.72:                               ;   in Loop: Header=BB9_3 Depth=1
	s_bcnt1_i32_b64 s20, s[20:21]
	v_mov_b32_e32 v30, s20
	buffer_wbl2
	s_waitcnt vmcnt(0)
	global_atomic_add_x2 v[0:1], v[30:31], off offset:8
.LBB9_73:                               ;   in Loop: Header=BB9_3 Depth=1
	s_or_b64 exec, exec, s[18:19]
	s_waitcnt vmcnt(0)
	global_load_dwordx2 v[2:3], v[0:1], off offset:16
	s_waitcnt vmcnt(0)
	v_cmp_eq_u64_e32 vcc, 0, v[2:3]
	s_cbranch_vccnz .LBB9_75
; %bb.74:                               ;   in Loop: Header=BB9_3 Depth=1
	global_load_dword v30, v[0:1], off offset:24
	s_waitcnt vmcnt(0)
	v_and_b32_e32 v0, 0xffffff, v30
	v_readfirstlane_b32 m0, v0
	buffer_wbl2
	global_store_dwordx2 v[2:3], v[30:31], off
	s_sendmsg sendmsg(MSG_INTERRUPT)
.LBB9_75:                               ;   in Loop: Header=BB9_3 Depth=1
	s_or_b64 exec, exec, s[16:17]
	v_add_co_u32_e32 v0, vcc, v10, v11
	v_addc_co_u32_e32 v1, vcc, 0, v7, vcc
	s_branch .LBB9_79
.LBB9_76:                               ;   in Loop: Header=BB9_79 Depth=2
	s_or_b64 exec, exec, s[16:17]
	v_readfirstlane_b32 s16, v2
	s_cmp_eq_u32 s16, 0
	s_cbranch_scc1 .LBB9_78
; %bb.77:                               ;   in Loop: Header=BB9_79 Depth=2
	s_sleep 1
	s_cbranch_execnz .LBB9_79
	s_branch .LBB9_81
.LBB9_78:                               ;   in Loop: Header=BB9_3 Depth=1
	s_branch .LBB9_81
.LBB9_79:                               ;   Parent Loop BB9_3 Depth=1
                                        ; =>  This Inner Loop Header: Depth=2
	v_mov_b32_e32 v2, 1
	s_and_saveexec_b64 s[16:17], s[4:5]
	s_cbranch_execz .LBB9_76
; %bb.80:                               ;   in Loop: Header=BB9_79 Depth=2
	global_load_dword v2, v[36:37], off offset:20 glc
	s_waitcnt vmcnt(0)
	buffer_invl2
	buffer_wbinvl1_vol
	v_and_b32_e32 v2, 1, v2
	s_branch .LBB9_76
.LBB9_81:                               ;   in Loop: Header=BB9_3 Depth=1
	global_load_dwordx4 v[0:3], v[0:1], off
	s_and_saveexec_b64 s[16:17], s[4:5]
	s_cbranch_execz .LBB9_2
; %bb.82:                               ;   in Loop: Header=BB9_3 Depth=1
	global_load_dwordx2 v[2:3], v31, s[12:13] offset:40
	global_load_dwordx2 v[10:11], v31, s[12:13] offset:24 glc
	global_load_dwordx2 v[18:19], v31, s[12:13]
	v_mov_b32_e32 v7, s15
	s_waitcnt vmcnt(2)
	v_add_co_u32_e32 v17, vcc, 1, v2
	v_addc_co_u32_e32 v20, vcc, 0, v3, vcc
	v_add_co_u32_e32 v14, vcc, s14, v17
	v_addc_co_u32_e32 v15, vcc, v20, v7, vcc
	v_cmp_eq_u64_e32 vcc, 0, v[14:15]
	v_cndmask_b32_e32 v15, v15, v20, vcc
	v_cndmask_b32_e32 v14, v14, v17, vcc
	v_and_b32_e32 v3, v15, v3
	v_and_b32_e32 v2, v14, v2
	v_mul_lo_u32 v3, v3, 24
	v_mul_hi_u32 v7, v2, 24
	v_mul_lo_u32 v2, v2, 24
	v_add_u32_e32 v3, v7, v3
	s_waitcnt vmcnt(0)
	v_add_co_u32_e32 v2, vcc, v18, v2
	v_addc_co_u32_e32 v3, vcc, v19, v3, vcc
	v_mov_b32_e32 v16, v10
	global_store_dwordx2 v[2:3], v[10:11], off
	v_mov_b32_e32 v17, v11
	buffer_wbl2
	s_waitcnt vmcnt(0)
	global_atomic_cmpswap_x2 v[16:17], v31, v[14:17], s[12:13] offset:24 glc
	s_waitcnt vmcnt(0)
	v_cmp_ne_u64_e32 vcc, v[16:17], v[10:11]
	s_and_b64 exec, exec, vcc
	s_cbranch_execz .LBB9_2
; %bb.83:                               ;   in Loop: Header=BB9_3 Depth=1
	s_mov_b64 s[4:5], 0
.LBB9_84:                               ;   Parent Loop BB9_3 Depth=1
                                        ; =>  This Inner Loop Header: Depth=2
	s_sleep 1
	global_store_dwordx2 v[2:3], v[16:17], off
	buffer_wbl2
	s_waitcnt vmcnt(0)
	global_atomic_cmpswap_x2 v[10:11], v31, v[14:17], s[12:13] offset:24 glc
	s_waitcnt vmcnt(0)
	v_cmp_eq_u64_e32 vcc, v[10:11], v[16:17]
	s_or_b64 s[4:5], vcc, s[4:5]
	v_pk_mov_b32 v[16:17], v[10:11], v[10:11] op_sel:[0,1]
	s_andn2_b64 exec, exec, s[4:5]
	s_cbranch_execnz .LBB9_84
	s_branch .LBB9_2
.LBB9_85:
	s_or_b64 exec, exec, s[6:7]
                                        ; implicit-def: $vgpr0
                                        ; implicit-def: $vgpr1
                                        ; implicit-def: $vgpr2
.LBB9_86:
	s_andn2_saveexec_b64 s[6:7], s[10:11]
	s_cbranch_execz .LBB9_109
; %bb.87:
	s_load_dwordx2 s[8:9], s[8:9], 0x50
	s_waitcnt vmcnt(0)
	v_mbcnt_hi_u32_b32 v3, -1, v2
	v_readfirstlane_b32 s4, v3
	v_cmp_eq_u32_e64 s[4:5], s4, v3
	v_pk_mov_b32 v[8:9], 0, 0
	s_and_saveexec_b64 s[10:11], s[4:5]
	s_cbranch_execz .LBB9_93
; %bb.88:
	v_mov_b32_e32 v2, 0
	s_waitcnt lgkmcnt(0)
	global_load_dwordx2 v[6:7], v2, s[8:9] offset:24 glc
	s_waitcnt vmcnt(0)
	buffer_invl2
	buffer_wbinvl1_vol
	global_load_dwordx2 v[4:5], v2, s[8:9] offset:40
	global_load_dwordx2 v[8:9], v2, s[8:9]
	s_waitcnt vmcnt(1)
	v_and_b32_e32 v4, v4, v6
	v_and_b32_e32 v5, v5, v7
	v_mul_lo_u32 v5, v5, 24
	v_mul_hi_u32 v10, v4, 24
	v_mul_lo_u32 v4, v4, 24
	v_add_u32_e32 v5, v10, v5
	s_waitcnt vmcnt(0)
	v_add_co_u32_e32 v4, vcc, v8, v4
	v_addc_co_u32_e32 v5, vcc, v9, v5, vcc
	global_load_dwordx2 v[4:5], v[4:5], off glc
	s_waitcnt vmcnt(0)
	global_atomic_cmpswap_x2 v[8:9], v2, v[4:7], s[8:9] offset:24 glc
	s_waitcnt vmcnt(0)
	buffer_invl2
	buffer_wbinvl1_vol
	v_cmp_ne_u64_e32 vcc, v[8:9], v[6:7]
	s_and_saveexec_b64 s[12:13], vcc
	s_cbranch_execz .LBB9_92
; %bb.89:
	s_mov_b64 s[14:15], 0
.LBB9_90:                               ; =>This Inner Loop Header: Depth=1
	s_sleep 1
	global_load_dwordx2 v[4:5], v2, s[8:9] offset:40
	global_load_dwordx2 v[10:11], v2, s[8:9]
	v_pk_mov_b32 v[6:7], v[8:9], v[8:9] op_sel:[0,1]
	s_waitcnt vmcnt(1)
	v_and_b32_e32 v4, v4, v6
	v_and_b32_e32 v9, v5, v7
	s_waitcnt vmcnt(0)
	v_mad_u64_u32 v[4:5], s[16:17], v4, 24, v[10:11]
	v_mov_b32_e32 v8, v5
	v_mad_u64_u32 v[8:9], s[16:17], v9, 24, v[8:9]
	v_mov_b32_e32 v5, v8
	global_load_dwordx2 v[4:5], v[4:5], off glc
	s_waitcnt vmcnt(0)
	global_atomic_cmpswap_x2 v[8:9], v2, v[4:7], s[8:9] offset:24 glc
	s_waitcnt vmcnt(0)
	buffer_invl2
	buffer_wbinvl1_vol
	v_cmp_eq_u64_e32 vcc, v[8:9], v[6:7]
	s_or_b64 s[14:15], vcc, s[14:15]
	s_andn2_b64 exec, exec, s[14:15]
	s_cbranch_execnz .LBB9_90
; %bb.91:
	s_or_b64 exec, exec, s[14:15]
.LBB9_92:
	s_or_b64 exec, exec, s[12:13]
.LBB9_93:
	s_or_b64 exec, exec, s[10:11]
	v_mov_b32_e32 v2, 0
	s_waitcnt lgkmcnt(0)
	global_load_dwordx2 v[10:11], v2, s[8:9] offset:40
	global_load_dwordx4 v[4:7], v2, s[8:9]
	v_readfirstlane_b32 s10, v8
	v_readfirstlane_b32 s11, v9
	s_mov_b64 s[12:13], exec
	s_waitcnt vmcnt(1)
	v_readfirstlane_b32 s14, v10
	v_readfirstlane_b32 s15, v11
	s_and_b64 s[14:15], s[10:11], s[14:15]
	s_mul_i32 s16, s15, 24
	s_mul_hi_u32 s17, s14, 24
	s_mul_i32 s18, s14, 24
	s_add_i32 s16, s17, s16
	v_mov_b32_e32 v9, s16
	s_waitcnt vmcnt(0)
	v_add_co_u32_e32 v8, vcc, s18, v4
	v_addc_co_u32_e32 v9, vcc, v5, v9, vcc
	s_and_saveexec_b64 s[16:17], s[4:5]
	s_cbranch_execz .LBB9_95
; %bb.94:
	v_pk_mov_b32 v[10:11], s[12:13], s[12:13] op_sel:[0,1]
	v_mov_b32_e32 v12, 2
	v_mov_b32_e32 v13, 1
	global_store_dwordx4 v[8:9], v[10:13], off offset:8
.LBB9_95:
	s_or_b64 exec, exec, s[16:17]
	s_lshl_b64 s[12:13], s[14:15], 12
	v_mov_b32_e32 v10, s13
	v_add_co_u32_e32 v6, vcc, s12, v6
	s_movk_i32 s12, 0xff1f
	v_addc_co_u32_e32 v7, vcc, v7, v10, vcc
	v_and_or_b32 v0, v0, s12, 32
	s_mov_b32 s12, 0
	v_lshlrev_b32_e32 v10, 6, v3
	v_mov_b32_e32 v3, v2
	v_readfirstlane_b32 s16, v6
	v_readfirstlane_b32 s17, v7
	s_mov_b32 s13, s12
	s_mov_b32 s14, s12
	;; [unrolled: 1-line block ×3, first 2 shown]
	s_nop 1
	global_store_dwordx4 v10, v[0:3], s[16:17]
	s_nop 0
	v_pk_mov_b32 v[0:1], s[12:13], s[12:13] op_sel:[0,1]
	v_pk_mov_b32 v[2:3], s[14:15], s[14:15] op_sel:[0,1]
	global_store_dwordx4 v10, v[0:3], s[16:17] offset:16
	global_store_dwordx4 v10, v[0:3], s[16:17] offset:32
	;; [unrolled: 1-line block ×3, first 2 shown]
	s_and_saveexec_b64 s[12:13], s[4:5]
	s_cbranch_execz .LBB9_103
; %bb.96:
	v_mov_b32_e32 v6, 0
	global_load_dwordx2 v[12:13], v6, s[8:9] offset:32 glc
	global_load_dwordx2 v[0:1], v6, s[8:9] offset:40
	v_mov_b32_e32 v10, s10
	v_mov_b32_e32 v11, s11
	s_waitcnt vmcnt(0)
	v_and_b32_e32 v0, s10, v0
	v_and_b32_e32 v1, s11, v1
	v_mul_lo_u32 v1, v1, 24
	v_mul_hi_u32 v2, v0, 24
	v_mul_lo_u32 v0, v0, 24
	v_add_u32_e32 v1, v2, v1
	v_add_co_u32_e32 v4, vcc, v4, v0
	v_addc_co_u32_e32 v5, vcc, v5, v1, vcc
	global_store_dwordx2 v[4:5], v[12:13], off
	buffer_wbl2
	s_waitcnt vmcnt(0)
	global_atomic_cmpswap_x2 v[2:3], v6, v[10:13], s[8:9] offset:32 glc
	s_waitcnt vmcnt(0)
	v_cmp_ne_u64_e32 vcc, v[2:3], v[12:13]
	s_and_saveexec_b64 s[14:15], vcc
	s_cbranch_execz .LBB9_99
; %bb.97:
	s_mov_b64 s[16:17], 0
.LBB9_98:                               ; =>This Inner Loop Header: Depth=1
	s_sleep 1
	global_store_dwordx2 v[4:5], v[2:3], off
	v_mov_b32_e32 v0, s10
	v_mov_b32_e32 v1, s11
	buffer_wbl2
	s_waitcnt vmcnt(0)
	global_atomic_cmpswap_x2 v[0:1], v6, v[0:3], s[8:9] offset:32 glc
	s_waitcnt vmcnt(0)
	v_cmp_eq_u64_e32 vcc, v[0:1], v[2:3]
	s_or_b64 s[16:17], vcc, s[16:17]
	v_pk_mov_b32 v[2:3], v[0:1], v[0:1] op_sel:[0,1]
	s_andn2_b64 exec, exec, s[16:17]
	s_cbranch_execnz .LBB9_98
.LBB9_99:
	s_or_b64 exec, exec, s[14:15]
	v_mov_b32_e32 v3, 0
	global_load_dwordx2 v[0:1], v3, s[8:9] offset:16
	s_mov_b64 s[14:15], exec
	v_mbcnt_lo_u32_b32 v2, s14, 0
	v_mbcnt_hi_u32_b32 v2, s15, v2
	v_cmp_eq_u32_e32 vcc, 0, v2
	s_and_saveexec_b64 s[16:17], vcc
	s_cbranch_execz .LBB9_101
; %bb.100:
	s_bcnt1_i32_b64 s14, s[14:15]
	v_mov_b32_e32 v2, s14
	buffer_wbl2
	s_waitcnt vmcnt(0)
	global_atomic_add_x2 v[0:1], v[2:3], off offset:8
.LBB9_101:
	s_or_b64 exec, exec, s[16:17]
	s_waitcnt vmcnt(0)
	global_load_dwordx2 v[2:3], v[0:1], off offset:16
	s_waitcnt vmcnt(0)
	v_cmp_eq_u64_e32 vcc, 0, v[2:3]
	s_cbranch_vccnz .LBB9_103
; %bb.102:
	global_load_dword v0, v[0:1], off offset:24
	v_mov_b32_e32 v1, 0
	buffer_wbl2
	s_waitcnt vmcnt(0)
	global_store_dwordx2 v[2:3], v[0:1], off
	v_and_b32_e32 v0, 0xffffff, v0
	v_readfirstlane_b32 m0, v0
	s_sendmsg sendmsg(MSG_INTERRUPT)
.LBB9_103:
	s_or_b64 exec, exec, s[12:13]
	s_branch .LBB9_107
.LBB9_104:                              ;   in Loop: Header=BB9_107 Depth=1
	s_or_b64 exec, exec, s[12:13]
	v_readfirstlane_b32 s12, v0
	s_cmp_eq_u32 s12, 0
	s_cbranch_scc1 .LBB9_106
; %bb.105:                              ;   in Loop: Header=BB9_107 Depth=1
	s_sleep 1
	s_cbranch_execnz .LBB9_107
	s_branch .LBB9_110
.LBB9_106:
	s_branch .LBB9_110
.LBB9_107:                              ; =>This Inner Loop Header: Depth=1
	v_mov_b32_e32 v0, 1
	s_and_saveexec_b64 s[12:13], s[4:5]
	s_cbranch_execz .LBB9_104
; %bb.108:                              ;   in Loop: Header=BB9_107 Depth=1
	global_load_dword v0, v[8:9], off offset:20 glc
	s_waitcnt vmcnt(0)
	buffer_invl2
	buffer_wbinvl1_vol
	v_and_b32_e32 v0, 1, v0
	s_branch .LBB9_104
.LBB9_109:
	s_or_b64 exec, exec, s[6:7]
	s_waitcnt vmcnt(0) lgkmcnt(0)
	s_setpc_b64 s[30:31]
.LBB9_110:
	s_and_saveexec_b64 s[12:13], s[4:5]
	s_cbranch_execz .LBB9_113
; %bb.111:
	v_mov_b32_e32 v6, 0
	global_load_dwordx2 v[4:5], v6, s[8:9] offset:40
	global_load_dwordx2 v[8:9], v6, s[8:9] offset:24 glc
	global_load_dwordx2 v[10:11], v6, s[8:9]
	v_mov_b32_e32 v1, s11
	s_mov_b64 s[4:5], 0
	s_waitcnt vmcnt(2)
	v_add_co_u32_e32 v3, vcc, 1, v4
	v_addc_co_u32_e32 v7, vcc, 0, v5, vcc
	v_add_co_u32_e32 v0, vcc, s10, v3
	v_addc_co_u32_e32 v1, vcc, v7, v1, vcc
	v_cmp_eq_u64_e32 vcc, 0, v[0:1]
	v_cndmask_b32_e32 v1, v1, v7, vcc
	v_cndmask_b32_e32 v0, v0, v3, vcc
	v_and_b32_e32 v3, v1, v5
	v_and_b32_e32 v4, v0, v4
	v_mul_lo_u32 v3, v3, 24
	v_mul_hi_u32 v5, v4, 24
	v_mul_lo_u32 v4, v4, 24
	v_add_u32_e32 v3, v5, v3
	s_waitcnt vmcnt(0)
	v_add_co_u32_e32 v4, vcc, v10, v4
	v_addc_co_u32_e32 v5, vcc, v11, v3, vcc
	v_mov_b32_e32 v2, v8
	global_store_dwordx2 v[4:5], v[8:9], off
	v_mov_b32_e32 v3, v9
	buffer_wbl2
	s_waitcnt vmcnt(0)
	global_atomic_cmpswap_x2 v[2:3], v6, v[0:3], s[8:9] offset:24 glc
	s_waitcnt vmcnt(0)
	v_cmp_ne_u64_e32 vcc, v[2:3], v[8:9]
	s_and_b64 exec, exec, vcc
	s_cbranch_execz .LBB9_113
.LBB9_112:                              ; =>This Inner Loop Header: Depth=1
	s_sleep 1
	global_store_dwordx2 v[4:5], v[2:3], off
	buffer_wbl2
	s_waitcnt vmcnt(0)
	global_atomic_cmpswap_x2 v[8:9], v6, v[0:3], s[8:9] offset:24 glc
	s_waitcnt vmcnt(0)
	v_cmp_eq_u64_e32 vcc, v[8:9], v[2:3]
	s_or_b64 s[4:5], vcc, s[4:5]
	v_pk_mov_b32 v[2:3], v[8:9], v[8:9] op_sel:[0,1]
	s_andn2_b64 exec, exec, s[4:5]
	s_cbranch_execnz .LBB9_112
.LBB9_113:
	s_or_b64 exec, exec, s[12:13]
	s_or_b64 exec, exec, s[6:7]
	s_waitcnt vmcnt(0) lgkmcnt(0)
	s_setpc_b64 s[30:31]
.Lfunc_end9:
	.size	__ockl_fprintf_append_string_n, .Lfunc_end9-__ockl_fprintf_append_string_n
                                        ; -- End function
	.section	.AMDGPU.csdata,"",@progbits
; Function info:
; codeLenInByte = 4372
; NumSgprs: 36
; NumVgprs: 38
; NumAgprs: 0
; TotalNumVgprs: 38
; ScratchSize: 0
; MemoryBound: 0
	.text
	.p2align	2                               ; -- Begin function __assert_fail
	.type	__assert_fail,@function
__assert_fail:                          ; @__assert_fail
; %bb.0:
	s_waitcnt vmcnt(0) expcnt(0) lgkmcnt(0)
	s_mov_b32 s25, s33
	s_mov_b32 s33, s32
	s_or_saveexec_b64 s[4:5], -1
	buffer_store_dword v40, off, s[0:3], s33 offset:48 ; 4-byte Folded Spill
	s_mov_b64 exec, s[4:5]
	v_writelane_b32 v40, s30, 0
	s_addk_i32 s32, 0x1000
	v_writelane_b32 v40, s31, 1
	s_getpc_b64 s[4:5]
	s_add_u32 s4, s4, __const.__assert_fail.fmt@rel32@lo+4
	s_addc_u32 s5, s5, __const.__assert_fail.fmt@rel32@hi+12
	s_load_dwordx4 s[4:7], s[4:5], 0x0
	v_mov_b32_e32 v35, v6
	v_mov_b32_e32 v6, v0
	;; [unrolled: 1-line block ×3, first 2 shown]
	buffer_store_short v0, off, s[0:3], s33 offset:44
	v_mov_b32_e32 v0, 0x64656c69
	buffer_store_dword v0, off, s[0:3], s33 offset:40
	v_mov_b32_e32 v0, 0x61662027
	s_getpc_b64 s[10:11]
	s_add_u32 s10, s10, __const.__assert_fail.fmt@rel32@lo+20
	s_addc_u32 s11, s11, __const.__assert_fail.fmt@rel32@hi+28
	buffer_store_dword v0, off, s[0:3], s33 offset:36
	v_mov_b32_e32 v0, 0x73256020
	s_load_dwordx4 s[12:15], s[10:11], 0x0
	buffer_store_dword v0, off, s[0:3], s33 offset:32
	s_waitcnt lgkmcnt(0)
	v_mov_b32_e32 v0, s7
	buffer_store_dword v0, off, s[0:3], s33 offset:12
	v_mov_b32_e32 v0, s6
	buffer_store_dword v0, off, s[0:3], s33 offset:8
	;; [unrolled: 2-line block ×3, first 2 shown]
	v_mov_b32_e32 v0, s4
	buffer_store_dword v0, off, s[0:3], s33
	v_mov_b32_e32 v0, s15
	buffer_store_dword v0, off, s[0:3], s33 offset:28
	v_mov_b32_e32 v0, s14
	buffer_store_dword v0, off, s[0:3], s33 offset:24
	;; [unrolled: 2-line block ×3, first 2 shown]
	v_mov_b32_e32 v0, s12
	s_load_dwordx2 s[10:11], s[8:9], 0x50
	buffer_store_dword v0, off, s[0:3], s33 offset:16
	v_mbcnt_lo_u32_b32 v0, -1, 0
	v_mbcnt_hi_u32_b32 v53, -1, v0
	v_readfirstlane_b32 s4, v53
	v_mov_b32_e32 v34, v5
	v_mov_b32_e32 v7, v1
	;; [unrolled: 1-line block ×3, first 2 shown]
	v_cmp_eq_u32_e64 s[4:5], s4, v53
	v_pk_mov_b32 v[0:1], 0, 0
	buffer_store_byte v5, off, s[0:3], s33 offset:46
	s_and_saveexec_b64 s[6:7], s[4:5]
	s_cbranch_execz .LBB10_6
; %bb.1:
	s_waitcnt lgkmcnt(0)
	global_load_dwordx2 v[10:11], v5, s[10:11] offset:24 glc
	s_waitcnt vmcnt(0)
	buffer_invl2
	buffer_wbinvl1_vol
	global_load_dwordx2 v[0:1], v5, s[10:11] offset:40
	global_load_dwordx2 v[8:9], v5, s[10:11]
	s_waitcnt vmcnt(1)
	v_and_b32_e32 v0, v0, v10
	v_and_b32_e32 v1, v1, v11
	v_mul_lo_u32 v1, v1, 24
	v_mul_hi_u32 v12, v0, 24
	v_mul_lo_u32 v0, v0, 24
	v_add_u32_e32 v1, v12, v1
	s_waitcnt vmcnt(0)
	v_add_co_u32_e32 v0, vcc, v8, v0
	v_addc_co_u32_e32 v1, vcc, v9, v1, vcc
	global_load_dwordx2 v[8:9], v[0:1], off glc
	s_waitcnt vmcnt(0)
	global_atomic_cmpswap_x2 v[0:1], v5, v[8:11], s[10:11] offset:24 glc
	s_waitcnt vmcnt(0)
	buffer_invl2
	buffer_wbinvl1_vol
	v_cmp_ne_u64_e32 vcc, v[0:1], v[10:11]
	s_and_saveexec_b64 s[12:13], vcc
	s_cbranch_execz .LBB10_5
; %bb.2:
	s_mov_b64 s[14:15], 0
.LBB10_3:                               ; =>This Inner Loop Header: Depth=1
	s_sleep 1
	global_load_dwordx2 v[8:9], v5, s[10:11] offset:40
	global_load_dwordx2 v[12:13], v5, s[10:11]
	v_pk_mov_b32 v[10:11], v[0:1], v[0:1] op_sel:[0,1]
	s_waitcnt vmcnt(1)
	v_and_b32_e32 v0, v8, v10
	s_waitcnt vmcnt(0)
	v_mad_u64_u32 v[0:1], s[16:17], v0, 24, v[12:13]
	v_and_b32_e32 v9, v9, v11
	v_mov_b32_e32 v8, v1
	v_mad_u64_u32 v[8:9], s[16:17], v9, 24, v[8:9]
	v_mov_b32_e32 v1, v8
	global_load_dwordx2 v[8:9], v[0:1], off glc
	s_waitcnt vmcnt(0)
	global_atomic_cmpswap_x2 v[0:1], v5, v[8:11], s[10:11] offset:24 glc
	s_waitcnt vmcnt(0)
	buffer_invl2
	buffer_wbinvl1_vol
	v_cmp_eq_u64_e32 vcc, v[0:1], v[10:11]
	s_or_b64 s[14:15], vcc, s[14:15]
	s_andn2_b64 exec, exec, s[14:15]
	s_cbranch_execnz .LBB10_3
; %bb.4:
	s_or_b64 exec, exec, s[14:15]
.LBB10_5:
	s_or_b64 exec, exec, s[12:13]
.LBB10_6:
	s_or_b64 exec, exec, s[6:7]
	s_waitcnt lgkmcnt(0)
	global_load_dwordx2 v[12:13], v5, s[10:11] offset:40
	global_load_dwordx4 v[8:11], v5, s[10:11]
	v_readfirstlane_b32 s6, v0
	v_readfirstlane_b32 s7, v1
	s_mov_b64 s[12:13], exec
	s_waitcnt vmcnt(1)
	v_readfirstlane_b32 s14, v12
	v_readfirstlane_b32 s15, v13
	s_and_b64 s[14:15], s[6:7], s[14:15]
	s_mul_i32 s16, s15, 24
	s_mul_hi_u32 s17, s14, 24
	s_mul_i32 s18, s14, 24
	s_add_i32 s16, s17, s16
	v_mov_b32_e32 v1, s16
	s_waitcnt vmcnt(0)
	v_add_co_u32_e32 v0, vcc, s18, v8
	v_addc_co_u32_e32 v1, vcc, v9, v1, vcc
	s_and_saveexec_b64 s[16:17], s[4:5]
	s_cbranch_execz .LBB10_8
; %bb.7:
	v_pk_mov_b32 v[12:13], s[12:13], s[12:13] op_sel:[0,1]
	v_mov_b32_e32 v14, 2
	v_mov_b32_e32 v15, 1
	global_store_dwordx4 v[0:1], v[12:15], off offset:8
.LBB10_8:
	s_or_b64 exec, exec, s[16:17]
	s_lshl_b64 s[12:13], s[14:15], 12
	v_mov_b32_e32 v5, s13
	v_add_co_u32_e32 v14, vcc, s12, v10
	v_addc_co_u32_e32 v5, vcc, v11, v5, vcc
	s_mov_b32 s12, 0
	v_mov_b32_e32 v11, 0
	v_lshlrev_b32_e32 v52, 6, v53
	v_mov_b32_e32 v10, 33
	v_mov_b32_e32 v12, 1
	;; [unrolled: 1-line block ×3, first 2 shown]
	v_readfirstlane_b32 s16, v14
	v_readfirstlane_b32 s17, v5
	s_mov_b32 s13, s12
	v_add_co_u32_e32 v16, vcc, v14, v52
	s_mov_b32 s14, s12
	s_mov_b32 s15, s12
	s_nop 0
	global_store_dwordx4 v52, v[10:13], s[16:17]
	v_addc_co_u32_e32 v17, vcc, 0, v5, vcc
	v_pk_mov_b32 v[12:13], s[12:13], s[12:13] op_sel:[0,1]
	v_pk_mov_b32 v[14:15], s[14:15], s[14:15] op_sel:[0,1]
	global_store_dwordx4 v52, v[12:15], s[16:17] offset:16
	global_store_dwordx4 v52, v[12:15], s[16:17] offset:32
	;; [unrolled: 1-line block ×3, first 2 shown]
	s_and_saveexec_b64 s[12:13], s[4:5]
	s_cbranch_execz .LBB10_16
; %bb.9:
	global_load_dwordx2 v[20:21], v11, s[10:11] offset:32 glc
	global_load_dwordx2 v[12:13], v11, s[10:11] offset:40
	v_mov_b32_e32 v18, s6
	v_mov_b32_e32 v19, s7
	s_waitcnt vmcnt(0)
	v_and_b32_e32 v5, s6, v12
	v_and_b32_e32 v10, s7, v13
	v_mul_lo_u32 v10, v10, 24
	v_mul_hi_u32 v12, v5, 24
	v_mul_lo_u32 v5, v5, 24
	v_add_u32_e32 v10, v12, v10
	v_add_co_u32_e32 v8, vcc, v8, v5
	v_addc_co_u32_e32 v9, vcc, v9, v10, vcc
	global_store_dwordx2 v[8:9], v[20:21], off
	buffer_wbl2
	s_waitcnt vmcnt(0)
	global_atomic_cmpswap_x2 v[14:15], v11, v[18:21], s[10:11] offset:32 glc
	s_waitcnt vmcnt(0)
	v_cmp_ne_u64_e32 vcc, v[14:15], v[20:21]
	s_and_saveexec_b64 s[14:15], vcc
	s_cbranch_execz .LBB10_12
; %bb.10:
	s_mov_b64 s[16:17], 0
.LBB10_11:                              ; =>This Inner Loop Header: Depth=1
	s_sleep 1
	global_store_dwordx2 v[8:9], v[14:15], off
	v_mov_b32_e32 v12, s6
	v_mov_b32_e32 v13, s7
	buffer_wbl2
	s_waitcnt vmcnt(0)
	global_atomic_cmpswap_x2 v[12:13], v11, v[12:15], s[10:11] offset:32 glc
	s_waitcnt vmcnt(0)
	v_cmp_eq_u64_e32 vcc, v[12:13], v[14:15]
	s_or_b64 s[16:17], vcc, s[16:17]
	v_pk_mov_b32 v[14:15], v[12:13], v[12:13] op_sel:[0,1]
	s_andn2_b64 exec, exec, s[16:17]
	s_cbranch_execnz .LBB10_11
.LBB10_12:
	s_or_b64 exec, exec, s[14:15]
	v_mov_b32_e32 v11, 0
	global_load_dwordx2 v[8:9], v11, s[10:11] offset:16
	s_mov_b64 s[14:15], exec
	v_mbcnt_lo_u32_b32 v5, s14, 0
	v_mbcnt_hi_u32_b32 v5, s15, v5
	v_cmp_eq_u32_e32 vcc, 0, v5
	s_and_saveexec_b64 s[16:17], vcc
	s_cbranch_execz .LBB10_14
; %bb.13:
	s_bcnt1_i32_b64 s14, s[14:15]
	v_mov_b32_e32 v10, s14
	buffer_wbl2
	s_waitcnt vmcnt(0)
	global_atomic_add_x2 v[8:9], v[10:11], off offset:8
.LBB10_14:
	s_or_b64 exec, exec, s[16:17]
	s_waitcnt vmcnt(0)
	global_load_dwordx2 v[10:11], v[8:9], off offset:16
	s_waitcnt vmcnt(0)
	v_cmp_eq_u64_e32 vcc, 0, v[10:11]
	s_cbranch_vccnz .LBB10_16
; %bb.15:
	global_load_dword v8, v[8:9], off offset:24
	v_mov_b32_e32 v9, 0
	s_waitcnt vmcnt(0)
	v_and_b32_e32 v5, 0xffffff, v8
	v_readfirstlane_b32 m0, v5
	buffer_wbl2
	global_store_dwordx2 v[10:11], v[8:9], off
	s_sendmsg sendmsg(MSG_INTERRUPT)
.LBB10_16:
	s_or_b64 exec, exec, s[12:13]
	s_branch .LBB10_20
.LBB10_17:                              ;   in Loop: Header=BB10_20 Depth=1
	s_or_b64 exec, exec, s[12:13]
	v_readfirstlane_b32 s12, v5
	s_cmp_eq_u32 s12, 0
	s_cbranch_scc1 .LBB10_19
; %bb.18:                               ;   in Loop: Header=BB10_20 Depth=1
	s_sleep 1
	s_cbranch_execnz .LBB10_20
	s_branch .LBB10_22
.LBB10_19:
	s_branch .LBB10_22
.LBB10_20:                              ; =>This Inner Loop Header: Depth=1
	v_mov_b32_e32 v5, 1
	s_and_saveexec_b64 s[12:13], s[4:5]
	s_cbranch_execz .LBB10_17
; %bb.21:                               ;   in Loop: Header=BB10_20 Depth=1
	global_load_dword v5, v[0:1], off offset:20 glc
	s_waitcnt vmcnt(0)
	buffer_invl2
	buffer_wbinvl1_vol
	v_and_b32_e32 v5, 1, v5
	s_branch .LBB10_17
.LBB10_22:
	global_load_dwordx2 v[12:13], v[16:17], off
	s_and_saveexec_b64 s[12:13], s[4:5]
	s_cbranch_execz .LBB10_25
; %bb.23:
	v_mov_b32_e32 v5, 0
	global_load_dwordx2 v[0:1], v5, s[10:11] offset:40
	global_load_dwordx2 v[14:15], v5, s[10:11] offset:24 glc
	global_load_dwordx2 v[16:17], v5, s[10:11]
	v_mov_b32_e32 v9, s7
	s_mov_b64 s[4:5], 0
	s_waitcnt vmcnt(2)
	v_add_co_u32_e32 v11, vcc, 1, v0
	v_addc_co_u32_e32 v18, vcc, 0, v1, vcc
	v_add_co_u32_e32 v8, vcc, s6, v11
	v_addc_co_u32_e32 v9, vcc, v18, v9, vcc
	v_cmp_eq_u64_e32 vcc, 0, v[8:9]
	v_cndmask_b32_e32 v9, v9, v18, vcc
	v_cndmask_b32_e32 v8, v8, v11, vcc
	v_and_b32_e32 v1, v9, v1
	v_and_b32_e32 v0, v8, v0
	v_mul_lo_u32 v1, v1, 24
	v_mul_hi_u32 v11, v0, 24
	v_mul_lo_u32 v0, v0, 24
	v_add_u32_e32 v1, v11, v1
	s_waitcnt vmcnt(0)
	v_add_co_u32_e32 v0, vcc, v16, v0
	v_addc_co_u32_e32 v1, vcc, v17, v1, vcc
	v_mov_b32_e32 v10, v14
	global_store_dwordx2 v[0:1], v[14:15], off
	v_mov_b32_e32 v11, v15
	buffer_wbl2
	s_waitcnt vmcnt(0)
	global_atomic_cmpswap_x2 v[10:11], v5, v[8:11], s[10:11] offset:24 glc
	s_waitcnt vmcnt(0)
	v_cmp_ne_u64_e32 vcc, v[10:11], v[14:15]
	s_and_b64 exec, exec, vcc
	s_cbranch_execz .LBB10_25
.LBB10_24:                              ; =>This Inner Loop Header: Depth=1
	s_sleep 1
	global_store_dwordx2 v[0:1], v[10:11], off
	buffer_wbl2
	s_waitcnt vmcnt(0)
	global_atomic_cmpswap_x2 v[14:15], v5, v[8:11], s[10:11] offset:24 glc
	s_waitcnt vmcnt(0)
	v_cmp_eq_u64_e32 vcc, v[14:15], v[10:11]
	s_or_b64 s[4:5], vcc, s[4:5]
	v_pk_mov_b32 v[10:11], v[14:15], v[14:15] op_sel:[0,1]
	s_andn2_b64 exec, exec, s[4:5]
	s_cbranch_execnz .LBB10_24
.LBB10_25:
	s_or_b64 exec, exec, s[12:13]
	v_lshrrev_b32_e64 v1, 6, s33
	s_mov_b64 s[4:5], 0
.LBB10_26:                              ; =>This Inner Loop Header: Depth=1
	buffer_load_ubyte v5, v1, s[0:3], 0 offen
	v_add_u32_e32 v0, 1, v1
	v_mov_b32_e32 v1, v0
	s_waitcnt vmcnt(0)
	v_cmp_eq_u16_e32 vcc, 0, v5
	s_or_b64 s[4:5], vcc, s[4:5]
	s_andn2_b64 exec, exec, s[4:5]
	s_cbranch_execnz .LBB10_26
; %bb.27:
	s_or_b64 exec, exec, s[4:5]
	v_lshrrev_b32_e64 v37, 6, s33
	v_cmp_ne_u32_e32 vcc, -1, v37
	s_cbranch_vccz .LBB10_112
; %bb.28:
	v_lshrrev_b32_e64 v1, 6, s33
	v_subrev_u32_e32 v0, v1, v0
	v_ashrrev_i32_e32 v1, 31, v0
	v_and_b32_e32 v36, 2, v12
	v_mov_b32_e32 v39, 0
	v_and_b32_e32 v8, -3, v12
	v_mov_b32_e32 v9, v13
	s_mov_b64 s[12:13], 0
	s_mov_b32 s20, 0
	s_movk_i32 s21, 0xff1f
	v_mov_b32_e32 v16, 2
	v_mov_b32_e32 v17, 1
	s_branch .LBB10_30
.LBB10_29:                              ;   in Loop: Header=BB10_30 Depth=1
	s_or_b64 exec, exec, s[6:7]
	v_sub_co_u32_e32 v0, vcc, v0, v50
	v_subb_co_u32_e32 v1, vcc, v1, v15, vcc
	v_cmp_eq_u64_e32 vcc, 0, v[0:1]
	s_or_b64 s[12:13], vcc, s[12:13]
	v_add_u32_e32 v37, v37, v50
	s_andn2_b64 exec, exec, s[12:13]
	s_cbranch_execz .LBB10_113
.LBB10_30:                              ; =>This Loop Header: Depth=1
                                        ;     Child Loop BB10_33 Depth 2
                                        ;     Child Loop BB10_41 Depth 2
	;; [unrolled: 1-line block ×11, first 2 shown]
	v_cmp_gt_u64_e32 vcc, 56, v[0:1]
	v_cndmask_b32_e32 v50, 56, v0, vcc
	v_cmp_gt_u64_e64 s[4:5], 8, v[0:1]
                                        ; implicit-def: $vgpr10_vgpr11
                                        ; implicit-def: $sgpr14
	s_and_saveexec_b64 s[6:7], s[4:5]
	s_xor_b64 s[6:7], exec, s[6:7]
	s_cbranch_execz .LBB10_36
; %bb.31:                               ;   in Loop: Header=BB10_30 Depth=1
	s_mov_b64 s[16:17], 0
	v_cmp_ne_u64_e64 s[4:5], 0, v[0:1]
	s_waitcnt vmcnt(0)
	v_pk_mov_b32 v[10:11], 0, 0
	s_and_saveexec_b64 s[14:15], s[4:5]
	s_cbranch_execz .LBB10_35
; %bb.32:                               ;   in Loop: Header=BB10_30 Depth=1
	s_mov_b32 s22, 0
	v_pk_mov_b32 v[10:11], 0, 0
	s_mov_b64 s[18:19], 0
.LBB10_33:                              ;   Parent Loop BB10_30 Depth=1
                                        ; =>  This Inner Loop Header: Depth=2
	v_add_u32_e32 v5, s22, v37
	buffer_load_ubyte v5, v5, s[0:3], 0 offen
	v_mov_b32_e32 v15, s20
	s_add_i32 s22, s22, 1
	v_cmp_eq_u32_e64 s[4:5], s22, v50
	s_waitcnt vmcnt(0)
	v_and_b32_e32 v14, 0xffff, v5
	v_lshlrev_b64 v[14:15], s18, v[14:15]
	s_add_u32 s18, s18, 8
	s_addc_u32 s19, s19, 0
	v_or_b32_e32 v11, v15, v11
	s_or_b64 s[16:17], s[4:5], s[16:17]
	v_or_b32_e32 v10, v14, v10
	s_andn2_b64 exec, exec, s[16:17]
	s_cbranch_execnz .LBB10_33
; %bb.34:                               ;   in Loop: Header=BB10_30 Depth=1
	s_or_b64 exec, exec, s[16:17]
.LBB10_35:                              ;   in Loop: Header=BB10_30 Depth=1
	s_or_b64 exec, exec, s[14:15]
	s_mov_b32 s14, 0
.LBB10_36:                              ;   in Loop: Header=BB10_30 Depth=1
	s_or_saveexec_b64 s[4:5], s[6:7]
	v_mov_b32_e32 v14, s14
	v_mov_b32_e32 v5, v37
	s_xor_b64 exec, exec, s[4:5]
	s_cbranch_execz .LBB10_38
; %bb.37:                               ;   in Loop: Header=BB10_30 Depth=1
	buffer_load_dword v5, v37, s[0:3], 0 offen offset:4
	buffer_load_dword v10, v37, s[0:3], 0 offen
	v_add_u32_e32 v14, -8, v50
	s_waitcnt vmcnt(1)
	v_and_b32_e32 v11, 0xff, v5
	v_and_b32_e32 v15, 0xff00, v5
	s_waitcnt vmcnt(0)
	v_or3_b32 v10, v10, 0, 0
	v_and_b32_e32 v18, 0xff0000, v5
	v_and_b32_e32 v5, 0xff000000, v5
	v_or3_b32 v11, 0, v11, v15
	v_or3_b32 v10, v10, 0, 0
	;; [unrolled: 1-line block ×3, first 2 shown]
	v_add_u32_e32 v5, 8, v37
.LBB10_38:                              ;   in Loop: Header=BB10_30 Depth=1
	s_or_b64 exec, exec, s[4:5]
	v_cmp_gt_u32_e64 s[4:5], 8, v14
                                        ; implicit-def: $vgpr18_vgpr19
                                        ; implicit-def: $sgpr14
	s_and_saveexec_b64 s[6:7], s[4:5]
	s_xor_b64 s[6:7], exec, s[6:7]
	s_cbranch_execz .LBB10_44
; %bb.39:                               ;   in Loop: Header=BB10_30 Depth=1
	v_cmp_ne_u32_e64 s[4:5], 0, v14
	v_pk_mov_b32 v[18:19], 0, 0
	s_and_saveexec_b64 s[14:15], s[4:5]
	s_cbranch_execz .LBB10_43
; %bb.40:                               ;   in Loop: Header=BB10_30 Depth=1
	s_mov_b32 s22, 0
	s_mov_b64 s[16:17], 0
	v_pk_mov_b32 v[18:19], 0, 0
	s_mov_b64 s[18:19], 0
.LBB10_41:                              ;   Parent Loop BB10_30 Depth=1
                                        ; =>  This Inner Loop Header: Depth=2
	v_add_u32_e32 v15, s22, v5
	buffer_load_ubyte v15, v15, s[0:3], 0 offen
	v_mov_b32_e32 v21, s20
	s_add_i32 s22, s22, 1
	v_cmp_eq_u32_e64 s[4:5], s22, v14
	s_waitcnt vmcnt(0)
	v_and_b32_e32 v20, 0xffff, v15
	v_lshlrev_b64 v[20:21], s18, v[20:21]
	s_add_u32 s18, s18, 8
	s_addc_u32 s19, s19, 0
	v_or_b32_e32 v19, v21, v19
	s_or_b64 s[16:17], s[4:5], s[16:17]
	v_or_b32_e32 v18, v20, v18
	s_andn2_b64 exec, exec, s[16:17]
	s_cbranch_execnz .LBB10_41
; %bb.42:                               ;   in Loop: Header=BB10_30 Depth=1
	s_or_b64 exec, exec, s[16:17]
.LBB10_43:                              ;   in Loop: Header=BB10_30 Depth=1
	s_or_b64 exec, exec, s[14:15]
	s_mov_b32 s14, 0
                                        ; implicit-def: $vgpr14
.LBB10_44:                              ;   in Loop: Header=BB10_30 Depth=1
	s_or_saveexec_b64 s[4:5], s[6:7]
	v_mov_b32_e32 v15, s14
	s_xor_b64 exec, exec, s[4:5]
	s_cbranch_execz .LBB10_46
; %bb.45:                               ;   in Loop: Header=BB10_30 Depth=1
	buffer_load_dword v18, v5, s[0:3], 0 offen offset:4
	buffer_load_dword v19, v5, s[0:3], 0 offen
	v_add_u32_e32 v15, -8, v14
	v_add_u32_e32 v5, 8, v5
	s_waitcnt vmcnt(1)
	v_and_b32_e32 v14, 0xff, v18
	v_and_b32_e32 v20, 0xff00, v18
	s_waitcnt vmcnt(0)
	v_or3_b32 v19, v19, 0, 0
	v_and_b32_e32 v21, 0xff0000, v18
	v_and_b32_e32 v22, 0xff000000, v18
	v_or3_b32 v14, 0, v14, v20
	v_or3_b32 v18, v19, 0, 0
	;; [unrolled: 1-line block ×3, first 2 shown]
.LBB10_46:                              ;   in Loop: Header=BB10_30 Depth=1
	s_or_b64 exec, exec, s[4:5]
	v_cmp_gt_u32_e64 s[4:5], 8, v15
                                        ; implicit-def: $sgpr14
	s_and_saveexec_b64 s[6:7], s[4:5]
	s_xor_b64 s[6:7], exec, s[6:7]
	s_cbranch_execz .LBB10_52
; %bb.47:                               ;   in Loop: Header=BB10_30 Depth=1
	v_cmp_ne_u32_e64 s[4:5], 0, v15
	v_pk_mov_b32 v[20:21], 0, 0
	s_and_saveexec_b64 s[14:15], s[4:5]
	s_cbranch_execz .LBB10_51
; %bb.48:                               ;   in Loop: Header=BB10_30 Depth=1
	s_mov_b32 s22, 0
	s_mov_b64 s[16:17], 0
	v_pk_mov_b32 v[20:21], 0, 0
	s_mov_b64 s[18:19], 0
.LBB10_49:                              ;   Parent Loop BB10_30 Depth=1
                                        ; =>  This Inner Loop Header: Depth=2
	v_add_u32_e32 v14, s22, v5
	buffer_load_ubyte v14, v14, s[0:3], 0 offen
	v_mov_b32_e32 v23, s20
	s_add_i32 s22, s22, 1
	v_cmp_eq_u32_e64 s[4:5], s22, v15
	s_waitcnt vmcnt(0)
	v_and_b32_e32 v22, 0xffff, v14
	v_lshlrev_b64 v[22:23], s18, v[22:23]
	s_add_u32 s18, s18, 8
	s_addc_u32 s19, s19, 0
	v_or_b32_e32 v21, v23, v21
	s_or_b64 s[16:17], s[4:5], s[16:17]
	v_or_b32_e32 v20, v22, v20
	s_andn2_b64 exec, exec, s[16:17]
	s_cbranch_execnz .LBB10_49
; %bb.50:                               ;   in Loop: Header=BB10_30 Depth=1
	s_or_b64 exec, exec, s[16:17]
.LBB10_51:                              ;   in Loop: Header=BB10_30 Depth=1
	s_or_b64 exec, exec, s[14:15]
	s_mov_b32 s14, 0
                                        ; implicit-def: $vgpr15
.LBB10_52:                              ;   in Loop: Header=BB10_30 Depth=1
	s_or_saveexec_b64 s[4:5], s[6:7]
	v_mov_b32_e32 v14, s14
	s_xor_b64 exec, exec, s[4:5]
	s_cbranch_execz .LBB10_54
; %bb.53:                               ;   in Loop: Header=BB10_30 Depth=1
	buffer_load_dword v20, v5, s[0:3], 0 offen offset:4
	buffer_load_dword v21, v5, s[0:3], 0 offen
	v_add_u32_e32 v14, -8, v15
	v_add_u32_e32 v5, 8, v5
	s_waitcnt vmcnt(1)
	v_and_b32_e32 v15, 0xff, v20
	v_and_b32_e32 v22, 0xff00, v20
	s_waitcnt vmcnt(0)
	v_or3_b32 v21, v21, 0, 0
	v_and_b32_e32 v23, 0xff0000, v20
	v_and_b32_e32 v24, 0xff000000, v20
	v_or3_b32 v15, 0, v15, v22
	v_or3_b32 v20, v21, 0, 0
	;; [unrolled: 1-line block ×3, first 2 shown]
.LBB10_54:                              ;   in Loop: Header=BB10_30 Depth=1
	s_or_b64 exec, exec, s[4:5]
	v_cmp_gt_u32_e64 s[4:5], 8, v14
                                        ; implicit-def: $vgpr22_vgpr23
                                        ; implicit-def: $sgpr14
	s_and_saveexec_b64 s[6:7], s[4:5]
	s_xor_b64 s[6:7], exec, s[6:7]
	s_cbranch_execz .LBB10_60
; %bb.55:                               ;   in Loop: Header=BB10_30 Depth=1
	v_cmp_ne_u32_e64 s[4:5], 0, v14
	v_pk_mov_b32 v[22:23], 0, 0
	s_and_saveexec_b64 s[14:15], s[4:5]
	s_cbranch_execz .LBB10_59
; %bb.56:                               ;   in Loop: Header=BB10_30 Depth=1
	s_mov_b32 s22, 0
	s_mov_b64 s[16:17], 0
	v_pk_mov_b32 v[22:23], 0, 0
	s_mov_b64 s[18:19], 0
.LBB10_57:                              ;   Parent Loop BB10_30 Depth=1
                                        ; =>  This Inner Loop Header: Depth=2
	v_add_u32_e32 v15, s22, v5
	buffer_load_ubyte v15, v15, s[0:3], 0 offen
	v_mov_b32_e32 v25, s20
	s_add_i32 s22, s22, 1
	v_cmp_eq_u32_e64 s[4:5], s22, v14
	s_waitcnt vmcnt(0)
	v_and_b32_e32 v24, 0xffff, v15
	v_lshlrev_b64 v[24:25], s18, v[24:25]
	s_add_u32 s18, s18, 8
	s_addc_u32 s19, s19, 0
	v_or_b32_e32 v23, v25, v23
	s_or_b64 s[16:17], s[4:5], s[16:17]
	v_or_b32_e32 v22, v24, v22
	s_andn2_b64 exec, exec, s[16:17]
	s_cbranch_execnz .LBB10_57
; %bb.58:                               ;   in Loop: Header=BB10_30 Depth=1
	s_or_b64 exec, exec, s[16:17]
.LBB10_59:                              ;   in Loop: Header=BB10_30 Depth=1
	s_or_b64 exec, exec, s[14:15]
	s_mov_b32 s14, 0
                                        ; implicit-def: $vgpr14
.LBB10_60:                              ;   in Loop: Header=BB10_30 Depth=1
	s_or_saveexec_b64 s[4:5], s[6:7]
	v_mov_b32_e32 v15, s14
	s_xor_b64 exec, exec, s[4:5]
	s_cbranch_execz .LBB10_62
; %bb.61:                               ;   in Loop: Header=BB10_30 Depth=1
	buffer_load_dword v22, v5, s[0:3], 0 offen offset:4
	buffer_load_dword v23, v5, s[0:3], 0 offen
	v_add_u32_e32 v15, -8, v14
	v_add_u32_e32 v5, 8, v5
	s_waitcnt vmcnt(1)
	v_and_b32_e32 v14, 0xff, v22
	v_and_b32_e32 v24, 0xff00, v22
	s_waitcnt vmcnt(0)
	v_or3_b32 v23, v23, 0, 0
	v_and_b32_e32 v25, 0xff0000, v22
	v_and_b32_e32 v26, 0xff000000, v22
	v_or3_b32 v14, 0, v14, v24
	v_or3_b32 v22, v23, 0, 0
	;; [unrolled: 1-line block ×3, first 2 shown]
.LBB10_62:                              ;   in Loop: Header=BB10_30 Depth=1
	s_or_b64 exec, exec, s[4:5]
	v_cmp_gt_u32_e64 s[4:5], 8, v15
                                        ; implicit-def: $sgpr14
	s_and_saveexec_b64 s[6:7], s[4:5]
	s_xor_b64 s[6:7], exec, s[6:7]
	s_cbranch_execz .LBB10_68
; %bb.63:                               ;   in Loop: Header=BB10_30 Depth=1
	v_cmp_ne_u32_e64 s[4:5], 0, v15
	v_pk_mov_b32 v[24:25], 0, 0
	s_and_saveexec_b64 s[14:15], s[4:5]
	s_cbranch_execz .LBB10_67
; %bb.64:                               ;   in Loop: Header=BB10_30 Depth=1
	s_mov_b32 s22, 0
	s_mov_b64 s[16:17], 0
	v_pk_mov_b32 v[24:25], 0, 0
	s_mov_b64 s[18:19], 0
.LBB10_65:                              ;   Parent Loop BB10_30 Depth=1
                                        ; =>  This Inner Loop Header: Depth=2
	v_add_u32_e32 v14, s22, v5
	buffer_load_ubyte v14, v14, s[0:3], 0 offen
	v_mov_b32_e32 v27, s20
	s_add_i32 s22, s22, 1
	v_cmp_eq_u32_e64 s[4:5], s22, v15
	s_waitcnt vmcnt(0)
	v_and_b32_e32 v26, 0xffff, v14
	v_lshlrev_b64 v[26:27], s18, v[26:27]
	s_add_u32 s18, s18, 8
	s_addc_u32 s19, s19, 0
	v_or_b32_e32 v25, v27, v25
	s_or_b64 s[16:17], s[4:5], s[16:17]
	v_or_b32_e32 v24, v26, v24
	s_andn2_b64 exec, exec, s[16:17]
	s_cbranch_execnz .LBB10_65
; %bb.66:                               ;   in Loop: Header=BB10_30 Depth=1
	s_or_b64 exec, exec, s[16:17]
.LBB10_67:                              ;   in Loop: Header=BB10_30 Depth=1
	s_or_b64 exec, exec, s[14:15]
	s_mov_b32 s14, 0
                                        ; implicit-def: $vgpr15
.LBB10_68:                              ;   in Loop: Header=BB10_30 Depth=1
	s_or_saveexec_b64 s[4:5], s[6:7]
	v_mov_b32_e32 v14, s14
	s_xor_b64 exec, exec, s[4:5]
	s_cbranch_execz .LBB10_70
; %bb.69:                               ;   in Loop: Header=BB10_30 Depth=1
	buffer_load_dword v24, v5, s[0:3], 0 offen offset:4
	buffer_load_dword v25, v5, s[0:3], 0 offen
	v_add_u32_e32 v14, -8, v15
	v_add_u32_e32 v5, 8, v5
	s_waitcnt vmcnt(1)
	v_and_b32_e32 v15, 0xff, v24
	v_and_b32_e32 v26, 0xff00, v24
	s_waitcnt vmcnt(0)
	v_or3_b32 v25, v25, 0, 0
	v_and_b32_e32 v27, 0xff0000, v24
	v_and_b32_e32 v28, 0xff000000, v24
	v_or3_b32 v15, 0, v15, v26
	v_or3_b32 v24, v25, 0, 0
	;; [unrolled: 1-line block ×3, first 2 shown]
.LBB10_70:                              ;   in Loop: Header=BB10_30 Depth=1
	s_or_b64 exec, exec, s[4:5]
	v_cmp_gt_u32_e64 s[4:5], 8, v14
                                        ; implicit-def: $vgpr26_vgpr27
                                        ; implicit-def: $sgpr14
	s_and_saveexec_b64 s[6:7], s[4:5]
	s_xor_b64 s[6:7], exec, s[6:7]
	s_cbranch_execz .LBB10_76
; %bb.71:                               ;   in Loop: Header=BB10_30 Depth=1
	v_cmp_ne_u32_e64 s[4:5], 0, v14
	v_pk_mov_b32 v[26:27], 0, 0
	s_and_saveexec_b64 s[14:15], s[4:5]
	s_cbranch_execz .LBB10_75
; %bb.72:                               ;   in Loop: Header=BB10_30 Depth=1
	s_mov_b32 s22, 0
	s_mov_b64 s[16:17], 0
	v_pk_mov_b32 v[26:27], 0, 0
	s_mov_b64 s[18:19], 0
.LBB10_73:                              ;   Parent Loop BB10_30 Depth=1
                                        ; =>  This Inner Loop Header: Depth=2
	v_add_u32_e32 v15, s22, v5
	buffer_load_ubyte v15, v15, s[0:3], 0 offen
	v_mov_b32_e32 v29, s20
	s_add_i32 s22, s22, 1
	v_cmp_eq_u32_e64 s[4:5], s22, v14
	s_waitcnt vmcnt(0)
	v_and_b32_e32 v28, 0xffff, v15
	v_lshlrev_b64 v[28:29], s18, v[28:29]
	s_add_u32 s18, s18, 8
	s_addc_u32 s19, s19, 0
	v_or_b32_e32 v27, v29, v27
	s_or_b64 s[16:17], s[4:5], s[16:17]
	v_or_b32_e32 v26, v28, v26
	s_andn2_b64 exec, exec, s[16:17]
	s_cbranch_execnz .LBB10_73
; %bb.74:                               ;   in Loop: Header=BB10_30 Depth=1
	s_or_b64 exec, exec, s[16:17]
.LBB10_75:                              ;   in Loop: Header=BB10_30 Depth=1
	s_or_b64 exec, exec, s[14:15]
	s_mov_b32 s14, 0
                                        ; implicit-def: $vgpr14
.LBB10_76:                              ;   in Loop: Header=BB10_30 Depth=1
	s_or_saveexec_b64 s[4:5], s[6:7]
	v_mov_b32_e32 v15, s14
	s_xor_b64 exec, exec, s[4:5]
	s_cbranch_execz .LBB10_78
; %bb.77:                               ;   in Loop: Header=BB10_30 Depth=1
	buffer_load_dword v26, v5, s[0:3], 0 offen offset:4
	buffer_load_dword v27, v5, s[0:3], 0 offen
	v_add_u32_e32 v15, -8, v14
	v_add_u32_e32 v5, 8, v5
	s_waitcnt vmcnt(1)
	v_and_b32_e32 v14, 0xff, v26
	v_and_b32_e32 v28, 0xff00, v26
	s_waitcnt vmcnt(0)
	v_or3_b32 v27, v27, 0, 0
	v_and_b32_e32 v29, 0xff0000, v26
	v_and_b32_e32 v30, 0xff000000, v26
	v_or3_b32 v14, 0, v14, v28
	v_or3_b32 v26, v27, 0, 0
	;; [unrolled: 1-line block ×3, first 2 shown]
.LBB10_78:                              ;   in Loop: Header=BB10_30 Depth=1
	s_or_b64 exec, exec, s[4:5]
	v_cmp_gt_u32_e64 s[4:5], 8, v15
	s_and_saveexec_b64 s[6:7], s[4:5]
	s_xor_b64 s[6:7], exec, s[6:7]
	s_cbranch_execz .LBB10_84
; %bb.79:                               ;   in Loop: Header=BB10_30 Depth=1
	v_cmp_ne_u32_e64 s[4:5], 0, v15
	v_pk_mov_b32 v[28:29], 0, 0
	s_and_saveexec_b64 s[14:15], s[4:5]
	s_cbranch_execz .LBB10_83
; %bb.80:                               ;   in Loop: Header=BB10_30 Depth=1
	s_mov_b64 s[16:17], 0
	v_pk_mov_b32 v[28:29], 0, 0
	s_mov_b64 s[18:19], 0
.LBB10_81:                              ;   Parent Loop BB10_30 Depth=1
                                        ; =>  This Inner Loop Header: Depth=2
	buffer_load_ubyte v14, v5, s[0:3], 0 offen
	v_mov_b32_e32 v31, s20
	v_add_u32_e32 v15, -1, v15
	v_cmp_eq_u32_e64 s[4:5], 0, v15
	v_add_u32_e32 v5, 1, v5
	s_waitcnt vmcnt(0)
	v_and_b32_e32 v30, 0xffff, v14
	v_lshlrev_b64 v[30:31], s18, v[30:31]
	s_add_u32 s18, s18, 8
	s_addc_u32 s19, s19, 0
	v_or_b32_e32 v29, v31, v29
	s_or_b64 s[16:17], s[4:5], s[16:17]
	v_or_b32_e32 v28, v30, v28
	s_andn2_b64 exec, exec, s[16:17]
	s_cbranch_execnz .LBB10_81
; %bb.82:                               ;   in Loop: Header=BB10_30 Depth=1
	s_or_b64 exec, exec, s[16:17]
.LBB10_83:                              ;   in Loop: Header=BB10_30 Depth=1
	s_or_b64 exec, exec, s[14:15]
                                        ; implicit-def: $vgpr5
.LBB10_84:                              ;   in Loop: Header=BB10_30 Depth=1
	s_andn2_saveexec_b64 s[4:5], s[6:7]
	s_cbranch_execz .LBB10_86
; %bb.85:                               ;   in Loop: Header=BB10_30 Depth=1
	buffer_load_dword v14, v5, s[0:3], 0 offen offset:4
	buffer_load_dword v15, v5, s[0:3], 0 offen
	s_waitcnt vmcnt(1)
	v_and_b32_e32 v5, 0xff, v14
	v_and_b32_e32 v28, 0xff00, v14
	s_waitcnt vmcnt(0)
	v_or3_b32 v15, v15, 0, 0
	v_and_b32_e32 v29, 0xff0000, v14
	v_and_b32_e32 v14, 0xff000000, v14
	v_or3_b32 v5, 0, v5, v28
	v_or3_b32 v29, v5, v29, v14
	;; [unrolled: 1-line block ×3, first 2 shown]
.LBB10_86:                              ;   in Loop: Header=BB10_30 Depth=1
	s_or_b64 exec, exec, s[4:5]
	v_readfirstlane_b32 s4, v53
	v_cmp_eq_u32_e64 s[4:5], s4, v53
	v_pk_mov_b32 v[14:15], 0, 0
	s_and_saveexec_b64 s[14:15], s[4:5]
	s_cbranch_execz .LBB10_92
; %bb.87:                               ;   in Loop: Header=BB10_30 Depth=1
	global_load_dwordx2 v[32:33], v39, s[10:11] offset:24 glc
	s_waitcnt vmcnt(0)
	buffer_invl2
	buffer_wbinvl1_vol
	global_load_dwordx2 v[14:15], v39, s[10:11] offset:40
	global_load_dwordx2 v[30:31], v39, s[10:11]
	s_waitcnt vmcnt(1)
	v_and_b32_e32 v5, v14, v32
	v_and_b32_e32 v14, v15, v33
	v_mul_lo_u32 v14, v14, 24
	v_mul_hi_u32 v15, v5, 24
	v_mul_lo_u32 v5, v5, 24
	v_add_u32_e32 v15, v15, v14
	s_waitcnt vmcnt(0)
	v_add_co_u32_e64 v14, s[6:7], v30, v5
	v_addc_co_u32_e64 v15, s[6:7], v31, v15, s[6:7]
	global_load_dwordx2 v[30:31], v[14:15], off glc
	s_waitcnt vmcnt(0)
	global_atomic_cmpswap_x2 v[14:15], v39, v[30:33], s[10:11] offset:24 glc
	s_waitcnt vmcnt(0)
	buffer_invl2
	buffer_wbinvl1_vol
	v_cmp_ne_u64_e64 s[6:7], v[14:15], v[32:33]
	s_and_saveexec_b64 s[16:17], s[6:7]
	s_cbranch_execz .LBB10_91
; %bb.88:                               ;   in Loop: Header=BB10_30 Depth=1
	s_mov_b64 s[18:19], 0
.LBB10_89:                              ;   Parent Loop BB10_30 Depth=1
                                        ; =>  This Inner Loop Header: Depth=2
	s_sleep 1
	global_load_dwordx2 v[30:31], v39, s[10:11] offset:40
	global_load_dwordx2 v[48:49], v39, s[10:11]
	v_pk_mov_b32 v[32:33], v[14:15], v[14:15] op_sel:[0,1]
	s_waitcnt vmcnt(1)
	v_and_b32_e32 v14, v30, v32
	s_waitcnt vmcnt(0)
	v_mad_u64_u32 v[14:15], s[6:7], v14, 24, v[48:49]
	v_and_b32_e32 v5, v31, v33
	v_mov_b32_e32 v30, v15
	v_mad_u64_u32 v[30:31], s[6:7], v5, 24, v[30:31]
	v_mov_b32_e32 v15, v30
	global_load_dwordx2 v[30:31], v[14:15], off glc
	s_waitcnt vmcnt(0)
	global_atomic_cmpswap_x2 v[14:15], v39, v[30:33], s[10:11] offset:24 glc
	s_waitcnt vmcnt(0)
	buffer_invl2
	buffer_wbinvl1_vol
	v_cmp_eq_u64_e64 s[6:7], v[14:15], v[32:33]
	s_or_b64 s[18:19], s[6:7], s[18:19]
	s_andn2_b64 exec, exec, s[18:19]
	s_cbranch_execnz .LBB10_89
; %bb.90:                               ;   in Loop: Header=BB10_30 Depth=1
	s_or_b64 exec, exec, s[18:19]
.LBB10_91:                              ;   in Loop: Header=BB10_30 Depth=1
	s_or_b64 exec, exec, s[16:17]
.LBB10_92:                              ;   in Loop: Header=BB10_30 Depth=1
	s_or_b64 exec, exec, s[14:15]
	global_load_dwordx2 v[48:49], v39, s[10:11] offset:40
	global_load_dwordx4 v[30:33], v39, s[10:11]
	v_readfirstlane_b32 s14, v14
	v_readfirstlane_b32 s15, v15
	s_mov_b64 s[16:17], exec
	s_waitcnt vmcnt(1)
	v_readfirstlane_b32 s6, v48
	v_readfirstlane_b32 s7, v49
	s_and_b64 s[18:19], s[14:15], s[6:7]
	s_mul_i32 s6, s19, 24
	s_mul_hi_u32 s7, s18, 24
	s_mul_i32 s22, s18, 24
	s_add_i32 s6, s7, s6
	v_mov_b32_e32 v5, s6
	s_waitcnt vmcnt(0)
	v_add_co_u32_e64 v48, s[6:7], s22, v30
	v_addc_co_u32_e64 v49, s[6:7], v31, v5, s[6:7]
	s_and_saveexec_b64 s[6:7], s[4:5]
	s_cbranch_execz .LBB10_94
; %bb.93:                               ;   in Loop: Header=BB10_30 Depth=1
	v_pk_mov_b32 v[14:15], s[16:17], s[16:17] op_sel:[0,1]
	global_store_dwordx4 v[48:49], v[14:17], off offset:8
.LBB10_94:                              ;   in Loop: Header=BB10_30 Depth=1
	s_or_b64 exec, exec, s[6:7]
	s_lshl_b64 s[6:7], s[18:19], 12
	v_cndmask_b32_e32 v15, 0, v1, vcc
	v_mov_b32_e32 v5, s7
	v_add_co_u32_e32 v14, vcc, s6, v32
	v_addc_co_u32_e32 v5, vcc, v33, v5, vcc
	v_or_b32_e32 v32, 0, v9
	v_cmp_lt_u64_e32 vcc, 56, v[0:1]
	v_or_b32_e32 v33, v8, v36
	v_cndmask_b32_e32 v9, v32, v9, vcc
	v_lshl_add_u32 v32, v50, 2, 28
	v_cndmask_b32_e32 v8, v33, v8, vcc
	v_and_b32_e32 v32, 0x1e0, v32
	v_and_or_b32 v8, v8, s21, v32
	v_readfirstlane_b32 s6, v14
	v_readfirstlane_b32 s7, v5
	s_nop 4
	global_store_dwordx4 v52, v[8:11], s[6:7]
	global_store_dwordx4 v52, v[18:21], s[6:7] offset:16
	global_store_dwordx4 v52, v[22:25], s[6:7] offset:32
	;; [unrolled: 1-line block ×3, first 2 shown]
	s_and_saveexec_b64 s[6:7], s[4:5]
	s_cbranch_execz .LBB10_102
; %bb.95:                               ;   in Loop: Header=BB10_30 Depth=1
	global_load_dwordx2 v[22:23], v39, s[10:11] offset:32 glc
	global_load_dwordx2 v[8:9], v39, s[10:11] offset:40
	v_mov_b32_e32 v20, s14
	v_mov_b32_e32 v21, s15
	s_waitcnt vmcnt(0)
	v_readfirstlane_b32 s16, v8
	v_readfirstlane_b32 s17, v9
	s_and_b64 s[16:17], s[16:17], s[14:15]
	s_mul_i32 s17, s17, 24
	s_mul_hi_u32 s18, s16, 24
	s_mul_i32 s16, s16, 24
	s_add_i32 s17, s18, s17
	v_mov_b32_e32 v8, s17
	v_add_co_u32_e32 v18, vcc, s16, v30
	v_addc_co_u32_e32 v19, vcc, v31, v8, vcc
	global_store_dwordx2 v[18:19], v[22:23], off
	buffer_wbl2
	s_waitcnt vmcnt(0)
	global_atomic_cmpswap_x2 v[10:11], v39, v[20:23], s[10:11] offset:32 glc
	s_waitcnt vmcnt(0)
	v_cmp_ne_u64_e32 vcc, v[10:11], v[22:23]
	s_and_saveexec_b64 s[16:17], vcc
	s_cbranch_execz .LBB10_98
; %bb.96:                               ;   in Loop: Header=BB10_30 Depth=1
	s_mov_b64 s[18:19], 0
.LBB10_97:                              ;   Parent Loop BB10_30 Depth=1
                                        ; =>  This Inner Loop Header: Depth=2
	s_sleep 1
	global_store_dwordx2 v[18:19], v[10:11], off
	v_mov_b32_e32 v8, s14
	v_mov_b32_e32 v9, s15
	buffer_wbl2
	s_waitcnt vmcnt(0)
	global_atomic_cmpswap_x2 v[8:9], v39, v[8:11], s[10:11] offset:32 glc
	s_waitcnt vmcnt(0)
	v_cmp_eq_u64_e32 vcc, v[8:9], v[10:11]
	s_or_b64 s[18:19], vcc, s[18:19]
	v_pk_mov_b32 v[10:11], v[8:9], v[8:9] op_sel:[0,1]
	s_andn2_b64 exec, exec, s[18:19]
	s_cbranch_execnz .LBB10_97
.LBB10_98:                              ;   in Loop: Header=BB10_30 Depth=1
	s_or_b64 exec, exec, s[16:17]
	global_load_dwordx2 v[8:9], v39, s[10:11] offset:16
	s_mov_b64 s[18:19], exec
	v_mbcnt_lo_u32_b32 v10, s18, 0
	v_mbcnt_hi_u32_b32 v10, s19, v10
	v_cmp_eq_u32_e32 vcc, 0, v10
	s_and_saveexec_b64 s[16:17], vcc
	s_cbranch_execz .LBB10_100
; %bb.99:                               ;   in Loop: Header=BB10_30 Depth=1
	s_bcnt1_i32_b64 s18, s[18:19]
	v_mov_b32_e32 v38, s18
	buffer_wbl2
	s_waitcnt vmcnt(0)
	global_atomic_add_x2 v[8:9], v[38:39], off offset:8
.LBB10_100:                             ;   in Loop: Header=BB10_30 Depth=1
	s_or_b64 exec, exec, s[16:17]
	s_waitcnt vmcnt(0)
	global_load_dwordx2 v[10:11], v[8:9], off offset:16
	s_waitcnt vmcnt(0)
	v_cmp_eq_u64_e32 vcc, 0, v[10:11]
	s_cbranch_vccnz .LBB10_102
; %bb.101:                              ;   in Loop: Header=BB10_30 Depth=1
	global_load_dword v38, v[8:9], off offset:24
	s_waitcnt vmcnt(0)
	v_and_b32_e32 v8, 0xffffff, v38
	v_readfirstlane_b32 m0, v8
	buffer_wbl2
	global_store_dwordx2 v[10:11], v[38:39], off
	s_sendmsg sendmsg(MSG_INTERRUPT)
.LBB10_102:                             ;   in Loop: Header=BB10_30 Depth=1
	s_or_b64 exec, exec, s[6:7]
	v_add_co_u32_e32 v8, vcc, v14, v52
	v_addc_co_u32_e32 v9, vcc, 0, v5, vcc
	s_branch .LBB10_106
.LBB10_103:                             ;   in Loop: Header=BB10_106 Depth=2
	s_or_b64 exec, exec, s[6:7]
	v_readfirstlane_b32 s6, v5
	s_cmp_eq_u32 s6, 0
	s_cbranch_scc1 .LBB10_105
; %bb.104:                              ;   in Loop: Header=BB10_106 Depth=2
	s_sleep 1
	s_cbranch_execnz .LBB10_106
	s_branch .LBB10_108
.LBB10_105:                             ;   in Loop: Header=BB10_30 Depth=1
	s_branch .LBB10_108
.LBB10_106:                             ;   Parent Loop BB10_30 Depth=1
                                        ; =>  This Inner Loop Header: Depth=2
	v_mov_b32_e32 v5, 1
	s_and_saveexec_b64 s[6:7], s[4:5]
	s_cbranch_execz .LBB10_103
; %bb.107:                              ;   in Loop: Header=BB10_106 Depth=2
	global_load_dword v5, v[48:49], off offset:20 glc
	s_waitcnt vmcnt(0)
	buffer_invl2
	buffer_wbinvl1_vol
	v_and_b32_e32 v5, 1, v5
	s_branch .LBB10_103
.LBB10_108:                             ;   in Loop: Header=BB10_30 Depth=1
	global_load_dwordx4 v[8:11], v[8:9], off
	s_and_saveexec_b64 s[6:7], s[4:5]
	s_cbranch_execz .LBB10_29
; %bb.109:                              ;   in Loop: Header=BB10_30 Depth=1
	global_load_dwordx2 v[10:11], v39, s[10:11] offset:40
	global_load_dwordx2 v[22:23], v39, s[10:11] offset:24 glc
	global_load_dwordx2 v[24:25], v39, s[10:11]
	v_mov_b32_e32 v5, s15
	s_waitcnt vmcnt(2)
	v_add_co_u32_e32 v14, vcc, 1, v10
	v_addc_co_u32_e32 v21, vcc, 0, v11, vcc
	v_add_co_u32_e32 v18, vcc, s14, v14
	v_addc_co_u32_e32 v19, vcc, v21, v5, vcc
	v_cmp_eq_u64_e32 vcc, 0, v[18:19]
	v_cndmask_b32_e32 v19, v19, v21, vcc
	v_cndmask_b32_e32 v18, v18, v14, vcc
	v_and_b32_e32 v5, v19, v11
	v_and_b32_e32 v10, v18, v10
	v_mul_lo_u32 v5, v5, 24
	v_mul_hi_u32 v11, v10, 24
	v_mul_lo_u32 v10, v10, 24
	v_add_u32_e32 v5, v11, v5
	s_waitcnt vmcnt(0)
	v_add_co_u32_e32 v10, vcc, v24, v10
	v_addc_co_u32_e32 v11, vcc, v25, v5, vcc
	v_mov_b32_e32 v20, v22
	global_store_dwordx2 v[10:11], v[22:23], off
	v_mov_b32_e32 v21, v23
	buffer_wbl2
	s_waitcnt vmcnt(0)
	global_atomic_cmpswap_x2 v[20:21], v39, v[18:21], s[10:11] offset:24 glc
	s_waitcnt vmcnt(0)
	v_cmp_ne_u64_e32 vcc, v[20:21], v[22:23]
	s_and_b64 exec, exec, vcc
	s_cbranch_execz .LBB10_29
; %bb.110:                              ;   in Loop: Header=BB10_30 Depth=1
	s_mov_b64 s[4:5], 0
.LBB10_111:                             ;   Parent Loop BB10_30 Depth=1
                                        ; =>  This Inner Loop Header: Depth=2
	s_sleep 1
	global_store_dwordx2 v[10:11], v[20:21], off
	buffer_wbl2
	s_waitcnt vmcnt(0)
	global_atomic_cmpswap_x2 v[22:23], v39, v[18:21], s[10:11] offset:24 glc
	s_waitcnt vmcnt(0)
	v_cmp_eq_u64_e32 vcc, v[22:23], v[20:21]
	s_or_b64 s[4:5], vcc, s[4:5]
	v_pk_mov_b32 v[20:21], v[22:23], v[22:23] op_sel:[0,1]
	s_andn2_b64 exec, exec, s[4:5]
	s_cbranch_execnz .LBB10_111
	s_branch .LBB10_29
.LBB10_112:
                                        ; implicit-def: $vgpr8_vgpr9
	s_cbranch_execnz .LBB10_114
	s_branch .LBB10_140
.LBB10_113:
	s_or_b64 exec, exec, s[12:13]
	s_branch .LBB10_140
.LBB10_114:
	v_readfirstlane_b32 s4, v53
	v_cmp_eq_u32_e64 s[4:5], s4, v53
	v_pk_mov_b32 v[0:1], 0, 0
	s_and_saveexec_b64 s[6:7], s[4:5]
	s_cbranch_execz .LBB10_120
; %bb.115:
	v_mov_b32_e32 v5, 0
	global_load_dwordx2 v[10:11], v5, s[10:11] offset:24 glc
	s_waitcnt vmcnt(0)
	buffer_invl2
	buffer_wbinvl1_vol
	global_load_dwordx2 v[0:1], v5, s[10:11] offset:40
	global_load_dwordx2 v[8:9], v5, s[10:11]
	s_waitcnt vmcnt(1)
	v_and_b32_e32 v0, v0, v10
	v_and_b32_e32 v1, v1, v11
	v_mul_lo_u32 v1, v1, 24
	v_mul_hi_u32 v14, v0, 24
	v_mul_lo_u32 v0, v0, 24
	v_add_u32_e32 v1, v14, v1
	s_waitcnt vmcnt(0)
	v_add_co_u32_e32 v0, vcc, v8, v0
	v_addc_co_u32_e32 v1, vcc, v9, v1, vcc
	global_load_dwordx2 v[8:9], v[0:1], off glc
	s_waitcnt vmcnt(0)
	global_atomic_cmpswap_x2 v[0:1], v5, v[8:11], s[10:11] offset:24 glc
	s_waitcnt vmcnt(0)
	buffer_invl2
	buffer_wbinvl1_vol
	v_cmp_ne_u64_e32 vcc, v[0:1], v[10:11]
	s_and_saveexec_b64 s[12:13], vcc
	s_cbranch_execz .LBB10_119
; %bb.116:
	s_mov_b64 s[14:15], 0
.LBB10_117:                             ; =>This Inner Loop Header: Depth=1
	s_sleep 1
	global_load_dwordx2 v[8:9], v5, s[10:11] offset:40
	global_load_dwordx2 v[14:15], v5, s[10:11]
	v_pk_mov_b32 v[10:11], v[0:1], v[0:1] op_sel:[0,1]
	s_waitcnt vmcnt(1)
	v_and_b32_e32 v0, v8, v10
	s_waitcnt vmcnt(0)
	v_mad_u64_u32 v[0:1], s[16:17], v0, 24, v[14:15]
	v_and_b32_e32 v9, v9, v11
	v_mov_b32_e32 v8, v1
	v_mad_u64_u32 v[8:9], s[16:17], v9, 24, v[8:9]
	v_mov_b32_e32 v1, v8
	global_load_dwordx2 v[8:9], v[0:1], off glc
	s_waitcnt vmcnt(0)
	global_atomic_cmpswap_x2 v[0:1], v5, v[8:11], s[10:11] offset:24 glc
	s_waitcnt vmcnt(0)
	buffer_invl2
	buffer_wbinvl1_vol
	v_cmp_eq_u64_e32 vcc, v[0:1], v[10:11]
	s_or_b64 s[14:15], vcc, s[14:15]
	s_andn2_b64 exec, exec, s[14:15]
	s_cbranch_execnz .LBB10_117
; %bb.118:
	s_or_b64 exec, exec, s[14:15]
.LBB10_119:
	s_or_b64 exec, exec, s[12:13]
.LBB10_120:
	s_or_b64 exec, exec, s[6:7]
	v_mov_b32_e32 v14, 0
	global_load_dwordx2 v[16:17], v14, s[10:11] offset:40
	global_load_dwordx4 v[8:11], v14, s[10:11]
	v_readfirstlane_b32 s6, v0
	v_readfirstlane_b32 s7, v1
	s_mov_b64 s[12:13], exec
	s_waitcnt vmcnt(1)
	v_readfirstlane_b32 s14, v16
	v_readfirstlane_b32 s15, v17
	s_and_b64 s[14:15], s[6:7], s[14:15]
	s_mul_i32 s16, s15, 24
	s_mul_hi_u32 s17, s14, 24
	s_mul_i32 s18, s14, 24
	s_add_i32 s16, s17, s16
	v_mov_b32_e32 v1, s16
	s_waitcnt vmcnt(0)
	v_add_co_u32_e32 v0, vcc, s18, v8
	v_addc_co_u32_e32 v1, vcc, v9, v1, vcc
	s_and_saveexec_b64 s[16:17], s[4:5]
	s_cbranch_execz .LBB10_122
; %bb.121:
	v_pk_mov_b32 v[16:17], s[12:13], s[12:13] op_sel:[0,1]
	v_mov_b32_e32 v18, 2
	v_mov_b32_e32 v19, 1
	global_store_dwordx4 v[0:1], v[16:19], off offset:8
.LBB10_122:
	s_or_b64 exec, exec, s[16:17]
	s_lshl_b64 s[12:13], s[14:15], 12
	v_mov_b32_e32 v5, s13
	v_add_co_u32_e32 v10, vcc, s12, v10
	s_movk_i32 s12, 0xff1f
	v_addc_co_u32_e32 v5, vcc, v11, v5, vcc
	v_and_or_b32 v12, v12, s12, 32
	s_mov_b32 s12, 0
	v_mov_b32_e32 v15, v14
	v_readfirstlane_b32 s16, v10
	v_readfirstlane_b32 s17, v5
	s_mov_b32 s13, s12
	v_add_co_u32_e32 v16, vcc, v10, v52
	s_mov_b32 s14, s12
	s_mov_b32 s15, s12
	s_nop 0
	global_store_dwordx4 v52, v[12:15], s[16:17]
	v_pk_mov_b32 v[10:11], s[12:13], s[12:13] op_sel:[0,1]
	v_addc_co_u32_e32 v17, vcc, 0, v5, vcc
	v_pk_mov_b32 v[12:13], s[14:15], s[14:15] op_sel:[0,1]
	global_store_dwordx4 v52, v[10:13], s[16:17] offset:16
	global_store_dwordx4 v52, v[10:13], s[16:17] offset:32
	;; [unrolled: 1-line block ×3, first 2 shown]
	s_and_saveexec_b64 s[12:13], s[4:5]
	s_cbranch_execz .LBB10_130
; %bb.123:
	v_mov_b32_e32 v5, 0
	global_load_dwordx2 v[20:21], v5, s[10:11] offset:32 glc
	global_load_dwordx2 v[10:11], v5, s[10:11] offset:40
	v_mov_b32_e32 v18, s6
	v_mov_b32_e32 v19, s7
	s_waitcnt vmcnt(0)
	v_readfirstlane_b32 s14, v10
	v_readfirstlane_b32 s15, v11
	s_and_b64 s[14:15], s[14:15], s[6:7]
	s_mul_i32 s15, s15, 24
	s_mul_hi_u32 s16, s14, 24
	s_mul_i32 s14, s14, 24
	s_add_i32 s15, s16, s15
	v_mov_b32_e32 v10, s15
	v_add_co_u32_e32 v12, vcc, s14, v8
	v_addc_co_u32_e32 v13, vcc, v9, v10, vcc
	global_store_dwordx2 v[12:13], v[20:21], off
	buffer_wbl2
	s_waitcnt vmcnt(0)
	global_atomic_cmpswap_x2 v[10:11], v5, v[18:21], s[10:11] offset:32 glc
	s_waitcnt vmcnt(0)
	v_cmp_ne_u64_e32 vcc, v[10:11], v[20:21]
	s_and_saveexec_b64 s[14:15], vcc
	s_cbranch_execz .LBB10_126
; %bb.124:
	s_mov_b64 s[16:17], 0
.LBB10_125:                             ; =>This Inner Loop Header: Depth=1
	s_sleep 1
	global_store_dwordx2 v[12:13], v[10:11], off
	v_mov_b32_e32 v8, s6
	v_mov_b32_e32 v9, s7
	buffer_wbl2
	s_waitcnt vmcnt(0)
	global_atomic_cmpswap_x2 v[8:9], v5, v[8:11], s[10:11] offset:32 glc
	s_waitcnt vmcnt(0)
	v_cmp_eq_u64_e32 vcc, v[8:9], v[10:11]
	s_or_b64 s[16:17], vcc, s[16:17]
	v_pk_mov_b32 v[10:11], v[8:9], v[8:9] op_sel:[0,1]
	s_andn2_b64 exec, exec, s[16:17]
	s_cbranch_execnz .LBB10_125
.LBB10_126:
	s_or_b64 exec, exec, s[14:15]
	v_mov_b32_e32 v11, 0
	global_load_dwordx2 v[8:9], v11, s[10:11] offset:16
	s_mov_b64 s[14:15], exec
	v_mbcnt_lo_u32_b32 v5, s14, 0
	v_mbcnt_hi_u32_b32 v5, s15, v5
	v_cmp_eq_u32_e32 vcc, 0, v5
	s_and_saveexec_b64 s[16:17], vcc
	s_cbranch_execz .LBB10_128
; %bb.127:
	s_bcnt1_i32_b64 s14, s[14:15]
	v_mov_b32_e32 v10, s14
	buffer_wbl2
	s_waitcnt vmcnt(0)
	global_atomic_add_x2 v[8:9], v[10:11], off offset:8
.LBB10_128:
	s_or_b64 exec, exec, s[16:17]
	s_waitcnt vmcnt(0)
	global_load_dwordx2 v[10:11], v[8:9], off offset:16
	s_waitcnt vmcnt(0)
	v_cmp_eq_u64_e32 vcc, 0, v[10:11]
	s_cbranch_vccnz .LBB10_130
; %bb.129:
	global_load_dword v8, v[8:9], off offset:24
	v_mov_b32_e32 v9, 0
	s_waitcnt vmcnt(0)
	v_and_b32_e32 v5, 0xffffff, v8
	v_readfirstlane_b32 m0, v5
	buffer_wbl2
	global_store_dwordx2 v[10:11], v[8:9], off
	s_sendmsg sendmsg(MSG_INTERRUPT)
.LBB10_130:
	s_or_b64 exec, exec, s[12:13]
	s_branch .LBB10_134
.LBB10_131:                             ;   in Loop: Header=BB10_134 Depth=1
	s_or_b64 exec, exec, s[12:13]
	v_readfirstlane_b32 s12, v5
	s_cmp_eq_u32 s12, 0
	s_cbranch_scc1 .LBB10_133
; %bb.132:                              ;   in Loop: Header=BB10_134 Depth=1
	s_sleep 1
	s_cbranch_execnz .LBB10_134
	s_branch .LBB10_136
.LBB10_133:
	s_branch .LBB10_136
.LBB10_134:                             ; =>This Inner Loop Header: Depth=1
	v_mov_b32_e32 v5, 1
	s_and_saveexec_b64 s[12:13], s[4:5]
	s_cbranch_execz .LBB10_131
; %bb.135:                              ;   in Loop: Header=BB10_134 Depth=1
	global_load_dword v5, v[0:1], off offset:20 glc
	s_waitcnt vmcnt(0)
	buffer_invl2
	buffer_wbinvl1_vol
	v_and_b32_e32 v5, 1, v5
	s_branch .LBB10_131
.LBB10_136:
	global_load_dwordx2 v[8:9], v[16:17], off
	s_and_saveexec_b64 s[12:13], s[4:5]
	s_cbranch_execz .LBB10_139
; %bb.137:
	v_mov_b32_e32 v5, 0
	global_load_dwordx2 v[0:1], v5, s[10:11] offset:40
	global_load_dwordx2 v[14:15], v5, s[10:11] offset:24 glc
	global_load_dwordx2 v[16:17], v5, s[10:11]
	v_mov_b32_e32 v11, s7
	s_mov_b64 s[4:5], 0
	s_waitcnt vmcnt(2)
	v_add_co_u32_e32 v13, vcc, 1, v0
	v_addc_co_u32_e32 v18, vcc, 0, v1, vcc
	v_add_co_u32_e32 v10, vcc, s6, v13
	v_addc_co_u32_e32 v11, vcc, v18, v11, vcc
	v_cmp_eq_u64_e32 vcc, 0, v[10:11]
	v_cndmask_b32_e32 v11, v11, v18, vcc
	v_cndmask_b32_e32 v10, v10, v13, vcc
	v_and_b32_e32 v1, v11, v1
	v_and_b32_e32 v0, v10, v0
	v_mul_lo_u32 v1, v1, 24
	v_mul_hi_u32 v13, v0, 24
	v_mul_lo_u32 v0, v0, 24
	v_add_u32_e32 v1, v13, v1
	s_waitcnt vmcnt(0)
	v_add_co_u32_e32 v0, vcc, v16, v0
	v_addc_co_u32_e32 v1, vcc, v17, v1, vcc
	v_mov_b32_e32 v12, v14
	global_store_dwordx2 v[0:1], v[14:15], off
	v_mov_b32_e32 v13, v15
	buffer_wbl2
	s_waitcnt vmcnt(0)
	global_atomic_cmpswap_x2 v[12:13], v5, v[10:13], s[10:11] offset:24 glc
	s_waitcnt vmcnt(0)
	v_cmp_ne_u64_e32 vcc, v[12:13], v[14:15]
	s_and_b64 exec, exec, vcc
	s_cbranch_execz .LBB10_139
.LBB10_138:                             ; =>This Inner Loop Header: Depth=1
	s_sleep 1
	global_store_dwordx2 v[0:1], v[12:13], off
	buffer_wbl2
	s_waitcnt vmcnt(0)
	global_atomic_cmpswap_x2 v[14:15], v5, v[10:13], s[10:11] offset:24 glc
	s_waitcnt vmcnt(0)
	v_cmp_eq_u64_e32 vcc, v[14:15], v[12:13]
	s_or_b64 s[4:5], vcc, s[4:5]
	v_pk_mov_b32 v[12:13], v[14:15], v[14:15] op_sel:[0,1]
	s_andn2_b64 exec, exec, s[4:5]
	s_cbranch_execnz .LBB10_138
.LBB10_139:
	s_or_b64 exec, exec, s[12:13]
.LBB10_140:
	s_mov_b64 s[4:5], 0
	s_waitcnt vmcnt(0)
	v_pk_mov_b32 v[10:11], v[2:3], v[2:3] op_sel:[0,1]
.LBB10_141:                             ; =>This Inner Loop Header: Depth=1
	flat_load_ubyte v5, v[10:11]
	v_add_co_u32_e32 v0, vcc, 1, v10
	v_addc_co_u32_e32 v1, vcc, 0, v11, vcc
	v_pk_mov_b32 v[10:11], v[0:1], v[0:1] op_sel:[0,1]
	s_waitcnt vmcnt(0) lgkmcnt(0)
	v_cmp_eq_u16_e32 vcc, 0, v5
	s_or_b64 s[4:5], vcc, s[4:5]
	s_andn2_b64 exec, exec, s[4:5]
	s_cbranch_execnz .LBB10_141
; %bb.142:
	s_or_b64 exec, exec, s[4:5]
	s_mov_b64 s[6:7], 0
	v_cmp_ne_u64_e32 vcc, 0, v[2:3]
	s_and_saveexec_b64 s[4:5], vcc
	s_xor_b64 s[12:13], exec, s[4:5]
	s_cbranch_execz .LBB10_228
; %bb.143:
	v_sub_u32_e32 v0, v0, v2
	v_ashrrev_i32_e32 v1, 31, v0
	v_and_b32_e32 v36, 2, v8
	v_mov_b32_e32 v39, 0
	v_and_b32_e32 v8, -3, v8
	s_mov_b32 s22, 0
	s_movk_i32 s23, 0xff1f
	v_mov_b32_e32 v12, 2
	v_mov_b32_e32 v13, 1
	s_branch .LBB10_145
.LBB10_144:                             ;   in Loop: Header=BB10_145 Depth=1
	s_or_b64 exec, exec, s[16:17]
	v_sub_co_u32_e32 v0, vcc, v0, v48
	v_subb_co_u32_e32 v1, vcc, v1, v49, vcc
	v_cmp_eq_u64_e32 vcc, 0, v[0:1]
	s_or_b64 s[6:7], vcc, s[6:7]
	v_add_co_u32_e32 v2, vcc, v2, v48
	v_addc_co_u32_e32 v3, vcc, v3, v49, vcc
	s_andn2_b64 exec, exec, s[6:7]
	s_cbranch_execz .LBB10_227
.LBB10_145:                             ; =>This Loop Header: Depth=1
                                        ;     Child Loop BB10_148 Depth 2
                                        ;     Child Loop BB10_156 Depth 2
	;; [unrolled: 1-line block ×11, first 2 shown]
	v_cmp_gt_u64_e32 vcc, 56, v[0:1]
	v_cndmask_b32_e32 v49, 0, v1, vcc
	v_cndmask_b32_e32 v48, 56, v0, vcc
	v_cmp_gt_u64_e32 vcc, 8, v[0:1]
                                        ; implicit-def: $vgpr16_vgpr17
                                        ; implicit-def: $sgpr14
	s_and_saveexec_b64 s[4:5], vcc
	s_xor_b64 s[4:5], exec, s[4:5]
	s_cbranch_execz .LBB10_151
; %bb.146:                              ;   in Loop: Header=BB10_145 Depth=1
	s_mov_b64 s[16:17], 0
	v_cmp_ne_u64_e32 vcc, 0, v[0:1]
	v_pk_mov_b32 v[16:17], 0, 0
	s_and_saveexec_b64 s[14:15], vcc
	s_cbranch_execz .LBB10_150
; %bb.147:                              ;   in Loop: Header=BB10_145 Depth=1
	s_waitcnt vmcnt(0)
	v_lshlrev_b64 v[10:11], 3, v[48:49]
	v_pk_mov_b32 v[16:17], 0, 0
	v_pk_mov_b32 v[14:15], v[2:3], v[2:3] op_sel:[0,1]
	s_mov_b64 s[18:19], 0
.LBB10_148:                             ;   Parent Loop BB10_145 Depth=1
                                        ; =>  This Inner Loop Header: Depth=2
	flat_load_ubyte v5, v[14:15]
	v_mov_b32_e32 v19, s22
	v_add_co_u32_e32 v14, vcc, 1, v14
	v_addc_co_u32_e32 v15, vcc, 0, v15, vcc
	s_waitcnt vmcnt(0) lgkmcnt(0)
	v_and_b32_e32 v18, 0xffff, v5
	v_lshlrev_b64 v[18:19], s18, v[18:19]
	s_add_u32 s18, s18, 8
	s_addc_u32 s19, s19, 0
	v_cmp_eq_u32_e32 vcc, s18, v10
	v_or_b32_e32 v17, v19, v17
	s_or_b64 s[16:17], vcc, s[16:17]
	v_or_b32_e32 v16, v18, v16
	s_andn2_b64 exec, exec, s[16:17]
	s_cbranch_execnz .LBB10_148
; %bb.149:                              ;   in Loop: Header=BB10_145 Depth=1
	s_or_b64 exec, exec, s[16:17]
.LBB10_150:                             ;   in Loop: Header=BB10_145 Depth=1
	s_or_b64 exec, exec, s[14:15]
	s_mov_b32 s14, 0
.LBB10_151:                             ;   in Loop: Header=BB10_145 Depth=1
	s_or_saveexec_b64 s[4:5], s[4:5]
	v_mov_b32_e32 v5, s14
	s_waitcnt vmcnt(0)
	v_pk_mov_b32 v[10:11], v[2:3], v[2:3] op_sel:[0,1]
	s_xor_b64 exec, exec, s[4:5]
	s_cbranch_execz .LBB10_153
; %bb.152:                              ;   in Loop: Header=BB10_145 Depth=1
	flat_load_dwordx2 v[10:11], v[2:3]
	v_add_u32_e32 v5, -8, v48
	s_waitcnt vmcnt(0) lgkmcnt(0)
	v_and_b32_e32 v14, 0xff, v11
	v_and_b32_e32 v15, 0xff00, v11
	;; [unrolled: 1-line block ×4, first 2 shown]
	v_or3_b32 v16, v10, 0, 0
	v_or_b32_e32 v10, v14, v15
	v_or3_b32 v17, v10, v17, v11
	v_add_co_u32_e32 v10, vcc, 8, v2
	v_addc_co_u32_e32 v11, vcc, 0, v3, vcc
.LBB10_153:                             ;   in Loop: Header=BB10_145 Depth=1
	s_or_b64 exec, exec, s[4:5]
	v_cmp_gt_u32_e32 vcc, 8, v5
                                        ; implicit-def: $vgpr18_vgpr19
                                        ; implicit-def: $sgpr14
	s_and_saveexec_b64 s[4:5], vcc
	s_xor_b64 s[4:5], exec, s[4:5]
	s_cbranch_execz .LBB10_159
; %bb.154:                              ;   in Loop: Header=BB10_145 Depth=1
	v_cmp_ne_u32_e32 vcc, 0, v5
	v_pk_mov_b32 v[18:19], 0, 0
	s_and_saveexec_b64 s[14:15], vcc
	s_cbranch_execz .LBB10_158
; %bb.155:                              ;   in Loop: Header=BB10_145 Depth=1
	s_mov_b64 s[16:17], 0
	v_pk_mov_b32 v[18:19], 0, 0
	s_mov_b64 s[18:19], 0
	s_mov_b64 s[20:21], 0
.LBB10_156:                             ;   Parent Loop BB10_145 Depth=1
                                        ; =>  This Inner Loop Header: Depth=2
	v_mov_b32_e32 v15, s21
	v_add_co_u32_e32 v14, vcc, s20, v10
	v_addc_co_u32_e32 v15, vcc, v11, v15, vcc
	flat_load_ubyte v14, v[14:15]
	s_add_u32 s20, s20, 1
	v_mov_b32_e32 v15, s22
	s_addc_u32 s21, s21, 0
	v_cmp_eq_u32_e32 vcc, s20, v5
	s_waitcnt vmcnt(0) lgkmcnt(0)
	v_and_b32_e32 v14, 0xffff, v14
	v_lshlrev_b64 v[14:15], s18, v[14:15]
	s_add_u32 s18, s18, 8
	s_addc_u32 s19, s19, 0
	v_or_b32_e32 v19, v15, v19
	s_or_b64 s[16:17], vcc, s[16:17]
	v_or_b32_e32 v18, v14, v18
	s_andn2_b64 exec, exec, s[16:17]
	s_cbranch_execnz .LBB10_156
; %bb.157:                              ;   in Loop: Header=BB10_145 Depth=1
	s_or_b64 exec, exec, s[16:17]
.LBB10_158:                             ;   in Loop: Header=BB10_145 Depth=1
	s_or_b64 exec, exec, s[14:15]
	s_mov_b32 s14, 0
                                        ; implicit-def: $vgpr5
.LBB10_159:                             ;   in Loop: Header=BB10_145 Depth=1
	s_or_saveexec_b64 s[4:5], s[4:5]
	v_mov_b32_e32 v14, s14
	s_xor_b64 exec, exec, s[4:5]
	s_cbranch_execz .LBB10_161
; %bb.160:                              ;   in Loop: Header=BB10_145 Depth=1
	flat_load_dwordx2 v[18:19], v[10:11]
	v_add_u32_e32 v14, -8, v5
	v_add_co_u32_e32 v10, vcc, 8, v10
	v_addc_co_u32_e32 v11, vcc, 0, v11, vcc
	s_waitcnt vmcnt(0) lgkmcnt(0)
	v_and_b32_e32 v5, 0xff, v19
	v_and_b32_e32 v15, 0xff00, v19
	;; [unrolled: 1-line block ×4, first 2 shown]
	v_or_b32_e32 v5, v5, v15
	v_or3_b32 v18, v18, 0, 0
	v_or3_b32 v19, v5, v20, v19
.LBB10_161:                             ;   in Loop: Header=BB10_145 Depth=1
	s_or_b64 exec, exec, s[4:5]
	v_cmp_gt_u32_e32 vcc, 8, v14
                                        ; implicit-def: $sgpr14
	s_and_saveexec_b64 s[4:5], vcc
	s_xor_b64 s[4:5], exec, s[4:5]
	s_cbranch_execz .LBB10_167
; %bb.162:                              ;   in Loop: Header=BB10_145 Depth=1
	v_cmp_ne_u32_e32 vcc, 0, v14
	v_pk_mov_b32 v[20:21], 0, 0
	s_and_saveexec_b64 s[14:15], vcc
	s_cbranch_execz .LBB10_166
; %bb.163:                              ;   in Loop: Header=BB10_145 Depth=1
	s_mov_b64 s[16:17], 0
	v_pk_mov_b32 v[20:21], 0, 0
	s_mov_b64 s[18:19], 0
	s_mov_b64 s[20:21], 0
.LBB10_164:                             ;   Parent Loop BB10_145 Depth=1
                                        ; =>  This Inner Loop Header: Depth=2
	v_mov_b32_e32 v5, s21
	v_add_co_u32_e32 v22, vcc, s20, v10
	v_addc_co_u32_e32 v23, vcc, v11, v5, vcc
	flat_load_ubyte v5, v[22:23]
	s_add_u32 s20, s20, 1
	v_mov_b32_e32 v23, s22
	s_addc_u32 s21, s21, 0
	v_cmp_eq_u32_e32 vcc, s20, v14
	s_waitcnt vmcnt(0) lgkmcnt(0)
	v_and_b32_e32 v22, 0xffff, v5
	v_lshlrev_b64 v[22:23], s18, v[22:23]
	s_add_u32 s18, s18, 8
	s_addc_u32 s19, s19, 0
	v_or_b32_e32 v21, v23, v21
	s_or_b64 s[16:17], vcc, s[16:17]
	v_or_b32_e32 v20, v22, v20
	s_andn2_b64 exec, exec, s[16:17]
	s_cbranch_execnz .LBB10_164
; %bb.165:                              ;   in Loop: Header=BB10_145 Depth=1
	s_or_b64 exec, exec, s[16:17]
.LBB10_166:                             ;   in Loop: Header=BB10_145 Depth=1
	s_or_b64 exec, exec, s[14:15]
	s_mov_b32 s14, 0
                                        ; implicit-def: $vgpr14
.LBB10_167:                             ;   in Loop: Header=BB10_145 Depth=1
	s_or_saveexec_b64 s[4:5], s[4:5]
	v_mov_b32_e32 v5, s14
	s_xor_b64 exec, exec, s[4:5]
	s_cbranch_execz .LBB10_169
; %bb.168:                              ;   in Loop: Header=BB10_145 Depth=1
	flat_load_dwordx2 v[20:21], v[10:11]
	v_add_u32_e32 v5, -8, v14
	v_add_co_u32_e32 v10, vcc, 8, v10
	v_addc_co_u32_e32 v11, vcc, 0, v11, vcc
	s_waitcnt vmcnt(0) lgkmcnt(0)
	v_and_b32_e32 v14, 0xff, v21
	v_and_b32_e32 v15, 0xff00, v21
	;; [unrolled: 1-line block ×4, first 2 shown]
	v_or_b32_e32 v14, v14, v15
	v_or3_b32 v20, v20, 0, 0
	v_or3_b32 v21, v14, v22, v21
.LBB10_169:                             ;   in Loop: Header=BB10_145 Depth=1
	s_or_b64 exec, exec, s[4:5]
	v_cmp_gt_u32_e32 vcc, 8, v5
                                        ; implicit-def: $vgpr22_vgpr23
                                        ; implicit-def: $sgpr14
	s_and_saveexec_b64 s[4:5], vcc
	s_xor_b64 s[4:5], exec, s[4:5]
	s_cbranch_execz .LBB10_175
; %bb.170:                              ;   in Loop: Header=BB10_145 Depth=1
	v_cmp_ne_u32_e32 vcc, 0, v5
	v_pk_mov_b32 v[22:23], 0, 0
	s_and_saveexec_b64 s[14:15], vcc
	s_cbranch_execz .LBB10_174
; %bb.171:                              ;   in Loop: Header=BB10_145 Depth=1
	s_mov_b64 s[16:17], 0
	v_pk_mov_b32 v[22:23], 0, 0
	s_mov_b64 s[18:19], 0
	s_mov_b64 s[20:21], 0
.LBB10_172:                             ;   Parent Loop BB10_145 Depth=1
                                        ; =>  This Inner Loop Header: Depth=2
	v_mov_b32_e32 v15, s21
	v_add_co_u32_e32 v14, vcc, s20, v10
	v_addc_co_u32_e32 v15, vcc, v11, v15, vcc
	flat_load_ubyte v14, v[14:15]
	s_add_u32 s20, s20, 1
	v_mov_b32_e32 v15, s22
	s_addc_u32 s21, s21, 0
	v_cmp_eq_u32_e32 vcc, s20, v5
	s_waitcnt vmcnt(0) lgkmcnt(0)
	v_and_b32_e32 v14, 0xffff, v14
	v_lshlrev_b64 v[14:15], s18, v[14:15]
	s_add_u32 s18, s18, 8
	s_addc_u32 s19, s19, 0
	v_or_b32_e32 v23, v15, v23
	s_or_b64 s[16:17], vcc, s[16:17]
	v_or_b32_e32 v22, v14, v22
	s_andn2_b64 exec, exec, s[16:17]
	s_cbranch_execnz .LBB10_172
; %bb.173:                              ;   in Loop: Header=BB10_145 Depth=1
	s_or_b64 exec, exec, s[16:17]
.LBB10_174:                             ;   in Loop: Header=BB10_145 Depth=1
	s_or_b64 exec, exec, s[14:15]
	s_mov_b32 s14, 0
                                        ; implicit-def: $vgpr5
.LBB10_175:                             ;   in Loop: Header=BB10_145 Depth=1
	s_or_saveexec_b64 s[4:5], s[4:5]
	v_mov_b32_e32 v14, s14
	s_xor_b64 exec, exec, s[4:5]
	s_cbranch_execz .LBB10_177
; %bb.176:                              ;   in Loop: Header=BB10_145 Depth=1
	flat_load_dwordx2 v[22:23], v[10:11]
	v_add_u32_e32 v14, -8, v5
	v_add_co_u32_e32 v10, vcc, 8, v10
	v_addc_co_u32_e32 v11, vcc, 0, v11, vcc
	s_waitcnt vmcnt(0) lgkmcnt(0)
	v_and_b32_e32 v5, 0xff, v23
	v_and_b32_e32 v15, 0xff00, v23
	v_and_b32_e32 v24, 0xff0000, v23
	v_and_b32_e32 v23, 0xff000000, v23
	v_or_b32_e32 v5, v5, v15
	v_or3_b32 v22, v22, 0, 0
	v_or3_b32 v23, v5, v24, v23
.LBB10_177:                             ;   in Loop: Header=BB10_145 Depth=1
	s_or_b64 exec, exec, s[4:5]
	v_cmp_gt_u32_e32 vcc, 8, v14
                                        ; implicit-def: $sgpr14
	s_and_saveexec_b64 s[4:5], vcc
	s_xor_b64 s[4:5], exec, s[4:5]
	s_cbranch_execz .LBB10_183
; %bb.178:                              ;   in Loop: Header=BB10_145 Depth=1
	v_cmp_ne_u32_e32 vcc, 0, v14
	v_pk_mov_b32 v[24:25], 0, 0
	s_and_saveexec_b64 s[14:15], vcc
	s_cbranch_execz .LBB10_182
; %bb.179:                              ;   in Loop: Header=BB10_145 Depth=1
	s_mov_b64 s[16:17], 0
	v_pk_mov_b32 v[24:25], 0, 0
	s_mov_b64 s[18:19], 0
	s_mov_b64 s[20:21], 0
.LBB10_180:                             ;   Parent Loop BB10_145 Depth=1
                                        ; =>  This Inner Loop Header: Depth=2
	v_mov_b32_e32 v5, s21
	v_add_co_u32_e32 v26, vcc, s20, v10
	v_addc_co_u32_e32 v27, vcc, v11, v5, vcc
	flat_load_ubyte v5, v[26:27]
	s_add_u32 s20, s20, 1
	v_mov_b32_e32 v27, s22
	s_addc_u32 s21, s21, 0
	v_cmp_eq_u32_e32 vcc, s20, v14
	s_waitcnt vmcnt(0) lgkmcnt(0)
	v_and_b32_e32 v26, 0xffff, v5
	v_lshlrev_b64 v[26:27], s18, v[26:27]
	s_add_u32 s18, s18, 8
	s_addc_u32 s19, s19, 0
	v_or_b32_e32 v25, v27, v25
	s_or_b64 s[16:17], vcc, s[16:17]
	v_or_b32_e32 v24, v26, v24
	s_andn2_b64 exec, exec, s[16:17]
	s_cbranch_execnz .LBB10_180
; %bb.181:                              ;   in Loop: Header=BB10_145 Depth=1
	s_or_b64 exec, exec, s[16:17]
.LBB10_182:                             ;   in Loop: Header=BB10_145 Depth=1
	s_or_b64 exec, exec, s[14:15]
	s_mov_b32 s14, 0
                                        ; implicit-def: $vgpr14
.LBB10_183:                             ;   in Loop: Header=BB10_145 Depth=1
	s_or_saveexec_b64 s[4:5], s[4:5]
	v_mov_b32_e32 v5, s14
	s_xor_b64 exec, exec, s[4:5]
	s_cbranch_execz .LBB10_185
; %bb.184:                              ;   in Loop: Header=BB10_145 Depth=1
	flat_load_dwordx2 v[24:25], v[10:11]
	v_add_u32_e32 v5, -8, v14
	v_add_co_u32_e32 v10, vcc, 8, v10
	v_addc_co_u32_e32 v11, vcc, 0, v11, vcc
	s_waitcnt vmcnt(0) lgkmcnt(0)
	v_and_b32_e32 v14, 0xff, v25
	v_and_b32_e32 v15, 0xff00, v25
	;; [unrolled: 1-line block ×4, first 2 shown]
	v_or_b32_e32 v14, v14, v15
	v_or3_b32 v24, v24, 0, 0
	v_or3_b32 v25, v14, v26, v25
.LBB10_185:                             ;   in Loop: Header=BB10_145 Depth=1
	s_or_b64 exec, exec, s[4:5]
	v_cmp_gt_u32_e32 vcc, 8, v5
                                        ; implicit-def: $vgpr26_vgpr27
                                        ; implicit-def: $sgpr14
	s_and_saveexec_b64 s[4:5], vcc
	s_xor_b64 s[4:5], exec, s[4:5]
	s_cbranch_execz .LBB10_191
; %bb.186:                              ;   in Loop: Header=BB10_145 Depth=1
	v_cmp_ne_u32_e32 vcc, 0, v5
	v_pk_mov_b32 v[26:27], 0, 0
	s_and_saveexec_b64 s[14:15], vcc
	s_cbranch_execz .LBB10_190
; %bb.187:                              ;   in Loop: Header=BB10_145 Depth=1
	s_mov_b64 s[16:17], 0
	v_pk_mov_b32 v[26:27], 0, 0
	s_mov_b64 s[18:19], 0
	s_mov_b64 s[20:21], 0
.LBB10_188:                             ;   Parent Loop BB10_145 Depth=1
                                        ; =>  This Inner Loop Header: Depth=2
	v_mov_b32_e32 v15, s21
	v_add_co_u32_e32 v14, vcc, s20, v10
	v_addc_co_u32_e32 v15, vcc, v11, v15, vcc
	flat_load_ubyte v14, v[14:15]
	s_add_u32 s20, s20, 1
	v_mov_b32_e32 v15, s22
	s_addc_u32 s21, s21, 0
	v_cmp_eq_u32_e32 vcc, s20, v5
	s_waitcnt vmcnt(0) lgkmcnt(0)
	v_and_b32_e32 v14, 0xffff, v14
	v_lshlrev_b64 v[14:15], s18, v[14:15]
	s_add_u32 s18, s18, 8
	s_addc_u32 s19, s19, 0
	v_or_b32_e32 v27, v15, v27
	s_or_b64 s[16:17], vcc, s[16:17]
	v_or_b32_e32 v26, v14, v26
	s_andn2_b64 exec, exec, s[16:17]
	s_cbranch_execnz .LBB10_188
; %bb.189:                              ;   in Loop: Header=BB10_145 Depth=1
	s_or_b64 exec, exec, s[16:17]
.LBB10_190:                             ;   in Loop: Header=BB10_145 Depth=1
	s_or_b64 exec, exec, s[14:15]
	s_mov_b32 s14, 0
                                        ; implicit-def: $vgpr5
.LBB10_191:                             ;   in Loop: Header=BB10_145 Depth=1
	s_or_saveexec_b64 s[4:5], s[4:5]
	v_mov_b32_e32 v14, s14
	s_xor_b64 exec, exec, s[4:5]
	s_cbranch_execz .LBB10_193
; %bb.192:                              ;   in Loop: Header=BB10_145 Depth=1
	flat_load_dwordx2 v[26:27], v[10:11]
	v_add_u32_e32 v14, -8, v5
	v_add_co_u32_e32 v10, vcc, 8, v10
	v_addc_co_u32_e32 v11, vcc, 0, v11, vcc
	s_waitcnt vmcnt(0) lgkmcnt(0)
	v_and_b32_e32 v5, 0xff, v27
	v_and_b32_e32 v15, 0xff00, v27
	;; [unrolled: 1-line block ×4, first 2 shown]
	v_or_b32_e32 v5, v5, v15
	v_or3_b32 v26, v26, 0, 0
	v_or3_b32 v27, v5, v28, v27
.LBB10_193:                             ;   in Loop: Header=BB10_145 Depth=1
	s_or_b64 exec, exec, s[4:5]
	v_cmp_gt_u32_e32 vcc, 8, v14
	s_and_saveexec_b64 s[4:5], vcc
	s_xor_b64 s[4:5], exec, s[4:5]
	s_cbranch_execz .LBB10_199
; %bb.194:                              ;   in Loop: Header=BB10_145 Depth=1
	v_cmp_ne_u32_e32 vcc, 0, v14
	v_pk_mov_b32 v[28:29], 0, 0
	s_and_saveexec_b64 s[14:15], vcc
	s_cbranch_execz .LBB10_198
; %bb.195:                              ;   in Loop: Header=BB10_145 Depth=1
	s_mov_b64 s[16:17], 0
	v_pk_mov_b32 v[28:29], 0, 0
	s_mov_b64 s[18:19], 0
.LBB10_196:                             ;   Parent Loop BB10_145 Depth=1
                                        ; =>  This Inner Loop Header: Depth=2
	flat_load_ubyte v5, v[10:11]
	v_mov_b32_e32 v31, s22
	v_add_co_u32_e32 v10, vcc, 1, v10
	v_add_u32_e32 v14, -1, v14
	v_addc_co_u32_e32 v11, vcc, 0, v11, vcc
	v_cmp_eq_u32_e32 vcc, 0, v14
	s_waitcnt vmcnt(0) lgkmcnt(0)
	v_and_b32_e32 v30, 0xffff, v5
	v_lshlrev_b64 v[30:31], s18, v[30:31]
	s_add_u32 s18, s18, 8
	s_addc_u32 s19, s19, 0
	v_or_b32_e32 v29, v31, v29
	s_or_b64 s[16:17], vcc, s[16:17]
	v_or_b32_e32 v28, v30, v28
	s_andn2_b64 exec, exec, s[16:17]
	s_cbranch_execnz .LBB10_196
; %bb.197:                              ;   in Loop: Header=BB10_145 Depth=1
	s_or_b64 exec, exec, s[16:17]
.LBB10_198:                             ;   in Loop: Header=BB10_145 Depth=1
	s_or_b64 exec, exec, s[14:15]
                                        ; implicit-def: $vgpr10_vgpr11
.LBB10_199:                             ;   in Loop: Header=BB10_145 Depth=1
	s_andn2_saveexec_b64 s[4:5], s[4:5]
	s_cbranch_execz .LBB10_201
; %bb.200:                              ;   in Loop: Header=BB10_145 Depth=1
	flat_load_dwordx2 v[10:11], v[10:11]
	s_waitcnt vmcnt(0) lgkmcnt(0)
	v_and_b32_e32 v5, 0xff, v11
	v_and_b32_e32 v14, 0xff00, v11
	;; [unrolled: 1-line block ×4, first 2 shown]
	v_or_b32_e32 v5, v5, v14
	v_or3_b32 v29, v5, v15, v11
	v_or3_b32 v28, v10, 0, 0
.LBB10_201:                             ;   in Loop: Header=BB10_145 Depth=1
	s_or_b64 exec, exec, s[4:5]
	v_readfirstlane_b32 s4, v53
	v_cmp_eq_u32_e64 s[4:5], s4, v53
	v_pk_mov_b32 v[10:11], 0, 0
	s_and_saveexec_b64 s[14:15], s[4:5]
	s_cbranch_execz .LBB10_207
; %bb.202:                              ;   in Loop: Header=BB10_145 Depth=1
	global_load_dwordx2 v[32:33], v39, s[10:11] offset:24 glc
	s_waitcnt vmcnt(0)
	buffer_invl2
	buffer_wbinvl1_vol
	global_load_dwordx2 v[10:11], v39, s[10:11] offset:40
	global_load_dwordx2 v[14:15], v39, s[10:11]
	s_waitcnt vmcnt(1)
	v_and_b32_e32 v5, v10, v32
	v_and_b32_e32 v10, v11, v33
	v_mul_lo_u32 v10, v10, 24
	v_mul_hi_u32 v11, v5, 24
	v_mul_lo_u32 v5, v5, 24
	v_add_u32_e32 v11, v11, v10
	s_waitcnt vmcnt(0)
	v_add_co_u32_e32 v10, vcc, v14, v5
	v_addc_co_u32_e32 v11, vcc, v15, v11, vcc
	global_load_dwordx2 v[30:31], v[10:11], off glc
	s_waitcnt vmcnt(0)
	global_atomic_cmpswap_x2 v[10:11], v39, v[30:33], s[10:11] offset:24 glc
	s_waitcnt vmcnt(0)
	buffer_invl2
	buffer_wbinvl1_vol
	v_cmp_ne_u64_e32 vcc, v[10:11], v[32:33]
	s_and_saveexec_b64 s[16:17], vcc
	s_cbranch_execz .LBB10_206
; %bb.203:                              ;   in Loop: Header=BB10_145 Depth=1
	s_mov_b64 s[18:19], 0
.LBB10_204:                             ;   Parent Loop BB10_145 Depth=1
                                        ; =>  This Inner Loop Header: Depth=2
	s_sleep 1
	global_load_dwordx2 v[14:15], v39, s[10:11] offset:40
	global_load_dwordx2 v[30:31], v39, s[10:11]
	v_pk_mov_b32 v[32:33], v[10:11], v[10:11] op_sel:[0,1]
	s_waitcnt vmcnt(1)
	v_and_b32_e32 v10, v14, v32
	s_waitcnt vmcnt(0)
	v_mad_u64_u32 v[10:11], s[20:21], v10, 24, v[30:31]
	v_and_b32_e32 v5, v15, v33
	v_mov_b32_e32 v14, v11
	v_mad_u64_u32 v[14:15], s[20:21], v5, 24, v[14:15]
	v_mov_b32_e32 v11, v14
	global_load_dwordx2 v[30:31], v[10:11], off glc
	s_waitcnt vmcnt(0)
	global_atomic_cmpswap_x2 v[10:11], v39, v[30:33], s[10:11] offset:24 glc
	s_waitcnt vmcnt(0)
	buffer_invl2
	buffer_wbinvl1_vol
	v_cmp_eq_u64_e32 vcc, v[10:11], v[32:33]
	s_or_b64 s[18:19], vcc, s[18:19]
	s_andn2_b64 exec, exec, s[18:19]
	s_cbranch_execnz .LBB10_204
; %bb.205:                              ;   in Loop: Header=BB10_145 Depth=1
	s_or_b64 exec, exec, s[18:19]
.LBB10_206:                             ;   in Loop: Header=BB10_145 Depth=1
	s_or_b64 exec, exec, s[16:17]
.LBB10_207:                             ;   in Loop: Header=BB10_145 Depth=1
	s_or_b64 exec, exec, s[14:15]
	global_load_dwordx2 v[14:15], v39, s[10:11] offset:40
	global_load_dwordx4 v[30:33], v39, s[10:11]
	v_readfirstlane_b32 s14, v10
	v_readfirstlane_b32 s15, v11
	s_mov_b64 s[16:17], exec
	s_waitcnt vmcnt(1)
	v_readfirstlane_b32 s18, v14
	v_readfirstlane_b32 s19, v15
	s_and_b64 s[18:19], s[14:15], s[18:19]
	s_mul_i32 s20, s19, 24
	s_mul_hi_u32 s21, s18, 24
	s_mul_i32 s24, s18, 24
	s_add_i32 s20, s21, s20
	v_mov_b32_e32 v5, s20
	s_waitcnt vmcnt(0)
	v_add_co_u32_e32 v50, vcc, s24, v30
	v_addc_co_u32_e32 v51, vcc, v31, v5, vcc
	s_and_saveexec_b64 s[20:21], s[4:5]
	s_cbranch_execz .LBB10_209
; %bb.208:                              ;   in Loop: Header=BB10_145 Depth=1
	v_pk_mov_b32 v[10:11], s[16:17], s[16:17] op_sel:[0,1]
	global_store_dwordx4 v[50:51], v[10:13], off offset:8
.LBB10_209:                             ;   in Loop: Header=BB10_145 Depth=1
	s_or_b64 exec, exec, s[20:21]
	s_lshl_b64 s[16:17], s[18:19], 12
	v_mov_b32_e32 v5, s17
	v_add_co_u32_e32 v32, vcc, s16, v32
	v_addc_co_u32_e32 v5, vcc, v33, v5, vcc
	v_or_b32_e32 v10, 0, v9
	v_cmp_lt_u64_e32 vcc, 56, v[0:1]
	v_or_b32_e32 v11, v8, v36
	v_cndmask_b32_e32 v15, v10, v9, vcc
	v_lshl_add_u32 v9, v48, 2, 28
	v_cndmask_b32_e32 v8, v11, v8, vcc
	v_and_b32_e32 v9, 0x1e0, v9
	v_and_or_b32 v14, v8, s23, v9
	v_readfirstlane_b32 s16, v32
	v_readfirstlane_b32 s17, v5
	s_nop 4
	global_store_dwordx4 v52, v[14:17], s[16:17]
	global_store_dwordx4 v52, v[18:21], s[16:17] offset:16
	global_store_dwordx4 v52, v[22:25], s[16:17] offset:32
	;; [unrolled: 1-line block ×3, first 2 shown]
	s_and_saveexec_b64 s[16:17], s[4:5]
	s_cbranch_execz .LBB10_217
; %bb.210:                              ;   in Loop: Header=BB10_145 Depth=1
	global_load_dwordx2 v[18:19], v39, s[10:11] offset:32 glc
	global_load_dwordx2 v[8:9], v39, s[10:11] offset:40
	v_mov_b32_e32 v16, s14
	v_mov_b32_e32 v17, s15
	s_waitcnt vmcnt(0)
	v_readfirstlane_b32 s18, v8
	v_readfirstlane_b32 s19, v9
	s_and_b64 s[18:19], s[18:19], s[14:15]
	s_mul_i32 s19, s19, 24
	s_mul_hi_u32 s20, s18, 24
	s_mul_i32 s18, s18, 24
	s_add_i32 s19, s20, s19
	v_mov_b32_e32 v8, s19
	v_add_co_u32_e32 v14, vcc, s18, v30
	v_addc_co_u32_e32 v15, vcc, v31, v8, vcc
	global_store_dwordx2 v[14:15], v[18:19], off
	buffer_wbl2
	s_waitcnt vmcnt(0)
	global_atomic_cmpswap_x2 v[10:11], v39, v[16:19], s[10:11] offset:32 glc
	s_waitcnt vmcnt(0)
	v_cmp_ne_u64_e32 vcc, v[10:11], v[18:19]
	s_and_saveexec_b64 s[18:19], vcc
	s_cbranch_execz .LBB10_213
; %bb.211:                              ;   in Loop: Header=BB10_145 Depth=1
	s_mov_b64 s[20:21], 0
.LBB10_212:                             ;   Parent Loop BB10_145 Depth=1
                                        ; =>  This Inner Loop Header: Depth=2
	s_sleep 1
	global_store_dwordx2 v[14:15], v[10:11], off
	v_mov_b32_e32 v8, s14
	v_mov_b32_e32 v9, s15
	buffer_wbl2
	s_waitcnt vmcnt(0)
	global_atomic_cmpswap_x2 v[8:9], v39, v[8:11], s[10:11] offset:32 glc
	s_waitcnt vmcnt(0)
	v_cmp_eq_u64_e32 vcc, v[8:9], v[10:11]
	s_or_b64 s[20:21], vcc, s[20:21]
	v_pk_mov_b32 v[10:11], v[8:9], v[8:9] op_sel:[0,1]
	s_andn2_b64 exec, exec, s[20:21]
	s_cbranch_execnz .LBB10_212
.LBB10_213:                             ;   in Loop: Header=BB10_145 Depth=1
	s_or_b64 exec, exec, s[18:19]
	global_load_dwordx2 v[8:9], v39, s[10:11] offset:16
	s_mov_b64 s[20:21], exec
	v_mbcnt_lo_u32_b32 v10, s20, 0
	v_mbcnt_hi_u32_b32 v10, s21, v10
	v_cmp_eq_u32_e32 vcc, 0, v10
	s_and_saveexec_b64 s[18:19], vcc
	s_cbranch_execz .LBB10_215
; %bb.214:                              ;   in Loop: Header=BB10_145 Depth=1
	s_bcnt1_i32_b64 s20, s[20:21]
	v_mov_b32_e32 v38, s20
	buffer_wbl2
	s_waitcnt vmcnt(0)
	global_atomic_add_x2 v[8:9], v[38:39], off offset:8
.LBB10_215:                             ;   in Loop: Header=BB10_145 Depth=1
	s_or_b64 exec, exec, s[18:19]
	s_waitcnt vmcnt(0)
	global_load_dwordx2 v[10:11], v[8:9], off offset:16
	s_waitcnt vmcnt(0)
	v_cmp_eq_u64_e32 vcc, 0, v[10:11]
	s_cbranch_vccnz .LBB10_217
; %bb.216:                              ;   in Loop: Header=BB10_145 Depth=1
	global_load_dword v38, v[8:9], off offset:24
	s_waitcnt vmcnt(0)
	v_and_b32_e32 v8, 0xffffff, v38
	v_readfirstlane_b32 m0, v8
	buffer_wbl2
	global_store_dwordx2 v[10:11], v[38:39], off
	s_sendmsg sendmsg(MSG_INTERRUPT)
.LBB10_217:                             ;   in Loop: Header=BB10_145 Depth=1
	s_or_b64 exec, exec, s[16:17]
	v_add_co_u32_e32 v8, vcc, v32, v52
	v_addc_co_u32_e32 v9, vcc, 0, v5, vcc
	s_branch .LBB10_221
.LBB10_218:                             ;   in Loop: Header=BB10_221 Depth=2
	s_or_b64 exec, exec, s[16:17]
	v_readfirstlane_b32 s16, v5
	s_cmp_eq_u32 s16, 0
	s_cbranch_scc1 .LBB10_220
; %bb.219:                              ;   in Loop: Header=BB10_221 Depth=2
	s_sleep 1
	s_cbranch_execnz .LBB10_221
	s_branch .LBB10_223
.LBB10_220:                             ;   in Loop: Header=BB10_145 Depth=1
	s_branch .LBB10_223
.LBB10_221:                             ;   Parent Loop BB10_145 Depth=1
                                        ; =>  This Inner Loop Header: Depth=2
	v_mov_b32_e32 v5, 1
	s_and_saveexec_b64 s[16:17], s[4:5]
	s_cbranch_execz .LBB10_218
; %bb.222:                              ;   in Loop: Header=BB10_221 Depth=2
	global_load_dword v5, v[50:51], off offset:20 glc
	s_waitcnt vmcnt(0)
	buffer_invl2
	buffer_wbinvl1_vol
	v_and_b32_e32 v5, 1, v5
	s_branch .LBB10_218
.LBB10_223:                             ;   in Loop: Header=BB10_145 Depth=1
	global_load_dwordx4 v[8:11], v[8:9], off
	s_and_saveexec_b64 s[16:17], s[4:5]
	s_cbranch_execz .LBB10_144
; %bb.224:                              ;   in Loop: Header=BB10_145 Depth=1
	global_load_dwordx2 v[10:11], v39, s[10:11] offset:40
	global_load_dwordx2 v[18:19], v39, s[10:11] offset:24 glc
	global_load_dwordx2 v[20:21], v39, s[10:11]
	v_mov_b32_e32 v5, s15
	s_waitcnt vmcnt(2)
	v_add_co_u32_e32 v17, vcc, 1, v10
	v_addc_co_u32_e32 v22, vcc, 0, v11, vcc
	v_add_co_u32_e32 v14, vcc, s14, v17
	v_addc_co_u32_e32 v15, vcc, v22, v5, vcc
	v_cmp_eq_u64_e32 vcc, 0, v[14:15]
	v_cndmask_b32_e32 v15, v15, v22, vcc
	v_cndmask_b32_e32 v14, v14, v17, vcc
	v_and_b32_e32 v5, v15, v11
	v_and_b32_e32 v10, v14, v10
	v_mul_lo_u32 v5, v5, 24
	v_mul_hi_u32 v11, v10, 24
	v_mul_lo_u32 v10, v10, 24
	v_add_u32_e32 v5, v11, v5
	s_waitcnt vmcnt(0)
	v_add_co_u32_e32 v10, vcc, v20, v10
	v_addc_co_u32_e32 v11, vcc, v21, v5, vcc
	v_mov_b32_e32 v16, v18
	global_store_dwordx2 v[10:11], v[18:19], off
	v_mov_b32_e32 v17, v19
	buffer_wbl2
	s_waitcnt vmcnt(0)
	global_atomic_cmpswap_x2 v[16:17], v39, v[14:17], s[10:11] offset:24 glc
	s_waitcnt vmcnt(0)
	v_cmp_ne_u64_e32 vcc, v[16:17], v[18:19]
	s_and_b64 exec, exec, vcc
	s_cbranch_execz .LBB10_144
; %bb.225:                              ;   in Loop: Header=BB10_145 Depth=1
	s_mov_b64 s[4:5], 0
.LBB10_226:                             ;   Parent Loop BB10_145 Depth=1
                                        ; =>  This Inner Loop Header: Depth=2
	s_sleep 1
	global_store_dwordx2 v[10:11], v[16:17], off
	buffer_wbl2
	s_waitcnt vmcnt(0)
	global_atomic_cmpswap_x2 v[18:19], v39, v[14:17], s[10:11] offset:24 glc
	s_waitcnt vmcnt(0)
	v_cmp_eq_u64_e32 vcc, v[18:19], v[16:17]
	s_or_b64 s[4:5], vcc, s[4:5]
	v_pk_mov_b32 v[16:17], v[18:19], v[18:19] op_sel:[0,1]
	s_andn2_b64 exec, exec, s[4:5]
	s_cbranch_execnz .LBB10_226
	s_branch .LBB10_144
.LBB10_227:
	s_or_b64 exec, exec, s[6:7]
.LBB10_228:
	s_andn2_saveexec_b64 s[6:7], s[12:13]
	s_cbranch_execz .LBB10_255
; %bb.229:
	v_readfirstlane_b32 s4, v53
	v_cmp_eq_u32_e64 s[4:5], s4, v53
	v_pk_mov_b32 v[12:13], 0, 0
	s_and_saveexec_b64 s[12:13], s[4:5]
	s_cbranch_execz .LBB10_235
; %bb.230:
	v_mov_b32_e32 v0, 0
	global_load_dwordx2 v[14:15], v0, s[10:11] offset:24 glc
	s_waitcnt vmcnt(0)
	buffer_invl2
	buffer_wbinvl1_vol
	global_load_dwordx2 v[2:3], v0, s[10:11] offset:40
	global_load_dwordx2 v[10:11], v0, s[10:11]
	s_waitcnt vmcnt(1)
	v_and_b32_e32 v1, v2, v14
	v_and_b32_e32 v2, v3, v15
	v_mul_lo_u32 v2, v2, 24
	v_mul_hi_u32 v3, v1, 24
	v_mul_lo_u32 v1, v1, 24
	v_add_u32_e32 v3, v3, v2
	s_waitcnt vmcnt(0)
	v_add_co_u32_e32 v2, vcc, v10, v1
	v_addc_co_u32_e32 v3, vcc, v11, v3, vcc
	global_load_dwordx2 v[12:13], v[2:3], off glc
	s_waitcnt vmcnt(0)
	global_atomic_cmpswap_x2 v[12:13], v0, v[12:15], s[10:11] offset:24 glc
	s_waitcnt vmcnt(0)
	buffer_invl2
	buffer_wbinvl1_vol
	v_cmp_ne_u64_e32 vcc, v[12:13], v[14:15]
	s_and_saveexec_b64 s[14:15], vcc
	s_cbranch_execz .LBB10_234
; %bb.231:
	s_mov_b64 s[16:17], 0
.LBB10_232:                             ; =>This Inner Loop Header: Depth=1
	s_sleep 1
	global_load_dwordx2 v[2:3], v0, s[10:11] offset:40
	global_load_dwordx2 v[10:11], v0, s[10:11]
	v_pk_mov_b32 v[14:15], v[12:13], v[12:13] op_sel:[0,1]
	s_waitcnt vmcnt(1)
	v_and_b32_e32 v2, v2, v14
	v_and_b32_e32 v1, v3, v15
	s_waitcnt vmcnt(0)
	v_mad_u64_u32 v[2:3], s[18:19], v2, 24, v[10:11]
	v_mov_b32_e32 v10, v3
	v_mad_u64_u32 v[10:11], s[18:19], v1, 24, v[10:11]
	v_mov_b32_e32 v3, v10
	global_load_dwordx2 v[12:13], v[2:3], off glc
	s_waitcnt vmcnt(0)
	global_atomic_cmpswap_x2 v[12:13], v0, v[12:15], s[10:11] offset:24 glc
	s_waitcnt vmcnt(0)
	buffer_invl2
	buffer_wbinvl1_vol
	v_cmp_eq_u64_e32 vcc, v[12:13], v[14:15]
	s_or_b64 s[16:17], vcc, s[16:17]
	s_andn2_b64 exec, exec, s[16:17]
	s_cbranch_execnz .LBB10_232
; %bb.233:
	s_or_b64 exec, exec, s[16:17]
.LBB10_234:
	s_or_b64 exec, exec, s[14:15]
.LBB10_235:
	s_or_b64 exec, exec, s[12:13]
	s_waitcnt vmcnt(0)
	v_mov_b32_e32 v10, 0
	global_load_dwordx2 v[14:15], v10, s[10:11] offset:40
	global_load_dwordx4 v[0:3], v10, s[10:11]
	v_readfirstlane_b32 s12, v12
	v_readfirstlane_b32 s13, v13
	s_mov_b64 s[14:15], exec
	s_waitcnt vmcnt(1)
	v_readfirstlane_b32 s16, v14
	v_readfirstlane_b32 s17, v15
	s_and_b64 s[16:17], s[12:13], s[16:17]
	s_mul_i32 s18, s17, 24
	s_mul_hi_u32 s19, s16, 24
	s_mul_i32 s20, s16, 24
	s_add_i32 s18, s19, s18
	v_mov_b32_e32 v5, s18
	s_waitcnt vmcnt(0)
	v_add_co_u32_e32 v12, vcc, s20, v0
	v_addc_co_u32_e32 v13, vcc, v1, v5, vcc
	s_and_saveexec_b64 s[18:19], s[4:5]
	s_cbranch_execz .LBB10_237
; %bb.236:
	v_pk_mov_b32 v[14:15], s[14:15], s[14:15] op_sel:[0,1]
	v_mov_b32_e32 v16, 2
	v_mov_b32_e32 v17, 1
	global_store_dwordx4 v[12:13], v[14:17], off offset:8
.LBB10_237:
	s_or_b64 exec, exec, s[18:19]
	s_lshl_b64 s[14:15], s[16:17], 12
	v_mov_b32_e32 v5, s15
	v_add_co_u32_e32 v2, vcc, s14, v2
	v_addc_co_u32_e32 v3, vcc, v3, v5, vcc
	s_movk_i32 s14, 0xff1f
	s_mov_b32 s16, 0
	v_and_or_b32 v8, v8, s14, 32
	v_mov_b32_e32 v11, v10
	v_readfirstlane_b32 s14, v2
	v_readfirstlane_b32 s15, v3
	s_mov_b32 s17, s16
	v_add_co_u32_e32 v14, vcc, v2, v52
	s_mov_b32 s18, s16
	s_mov_b32 s19, s16
	s_nop 0
	global_store_dwordx4 v52, v[8:11], s[14:15]
	v_addc_co_u32_e32 v15, vcc, 0, v3, vcc
	v_pk_mov_b32 v[8:9], s[16:17], s[16:17] op_sel:[0,1]
	v_pk_mov_b32 v[10:11], s[18:19], s[18:19] op_sel:[0,1]
	global_store_dwordx4 v52, v[8:11], s[14:15] offset:16
	global_store_dwordx4 v52, v[8:11], s[14:15] offset:32
	;; [unrolled: 1-line block ×3, first 2 shown]
	s_and_saveexec_b64 s[14:15], s[4:5]
	s_cbranch_execz .LBB10_245
; %bb.238:
	v_mov_b32_e32 v5, 0
	global_load_dwordx2 v[18:19], v5, s[10:11] offset:32 glc
	global_load_dwordx2 v[2:3], v5, s[10:11] offset:40
	v_mov_b32_e32 v16, s12
	v_mov_b32_e32 v17, s13
	s_waitcnt vmcnt(0)
	v_readfirstlane_b32 s16, v2
	v_readfirstlane_b32 s17, v3
	s_and_b64 s[16:17], s[16:17], s[12:13]
	s_mul_i32 s17, s17, 24
	s_mul_hi_u32 s18, s16, 24
	s_mul_i32 s16, s16, 24
	s_add_i32 s17, s18, s17
	v_mov_b32_e32 v2, s17
	v_add_co_u32_e32 v8, vcc, s16, v0
	v_addc_co_u32_e32 v9, vcc, v1, v2, vcc
	global_store_dwordx2 v[8:9], v[18:19], off
	buffer_wbl2
	s_waitcnt vmcnt(0)
	global_atomic_cmpswap_x2 v[2:3], v5, v[16:19], s[10:11] offset:32 glc
	s_waitcnt vmcnt(0)
	v_cmp_ne_u64_e32 vcc, v[2:3], v[18:19]
	s_and_saveexec_b64 s[16:17], vcc
	s_cbranch_execz .LBB10_241
; %bb.239:
	s_mov_b64 s[18:19], 0
.LBB10_240:                             ; =>This Inner Loop Header: Depth=1
	s_sleep 1
	global_store_dwordx2 v[8:9], v[2:3], off
	v_mov_b32_e32 v0, s12
	v_mov_b32_e32 v1, s13
	buffer_wbl2
	s_waitcnt vmcnt(0)
	global_atomic_cmpswap_x2 v[0:1], v5, v[0:3], s[10:11] offset:32 glc
	s_waitcnt vmcnt(0)
	v_cmp_eq_u64_e32 vcc, v[0:1], v[2:3]
	s_or_b64 s[18:19], vcc, s[18:19]
	v_pk_mov_b32 v[2:3], v[0:1], v[0:1] op_sel:[0,1]
	s_andn2_b64 exec, exec, s[18:19]
	s_cbranch_execnz .LBB10_240
.LBB10_241:
	s_or_b64 exec, exec, s[16:17]
	v_mov_b32_e32 v3, 0
	global_load_dwordx2 v[0:1], v3, s[10:11] offset:16
	s_mov_b64 s[16:17], exec
	v_mbcnt_lo_u32_b32 v2, s16, 0
	v_mbcnt_hi_u32_b32 v2, s17, v2
	v_cmp_eq_u32_e32 vcc, 0, v2
	s_and_saveexec_b64 s[18:19], vcc
	s_cbranch_execz .LBB10_243
; %bb.242:
	s_bcnt1_i32_b64 s16, s[16:17]
	v_mov_b32_e32 v2, s16
	buffer_wbl2
	s_waitcnt vmcnt(0)
	global_atomic_add_x2 v[0:1], v[2:3], off offset:8
.LBB10_243:
	s_or_b64 exec, exec, s[18:19]
	s_waitcnt vmcnt(0)
	global_load_dwordx2 v[2:3], v[0:1], off offset:16
	s_waitcnt vmcnt(0)
	v_cmp_eq_u64_e32 vcc, 0, v[2:3]
	s_cbranch_vccnz .LBB10_245
; %bb.244:
	global_load_dword v0, v[0:1], off offset:24
	v_mov_b32_e32 v1, 0
	buffer_wbl2
	s_waitcnt vmcnt(0)
	global_store_dwordx2 v[2:3], v[0:1], off
	v_and_b32_e32 v0, 0xffffff, v0
	v_readfirstlane_b32 m0, v0
	s_sendmsg sendmsg(MSG_INTERRUPT)
.LBB10_245:
	s_or_b64 exec, exec, s[14:15]
	s_branch .LBB10_249
.LBB10_246:                             ;   in Loop: Header=BB10_249 Depth=1
	s_or_b64 exec, exec, s[14:15]
	v_readfirstlane_b32 s14, v0
	s_cmp_eq_u32 s14, 0
	s_cbranch_scc1 .LBB10_248
; %bb.247:                              ;   in Loop: Header=BB10_249 Depth=1
	s_sleep 1
	s_cbranch_execnz .LBB10_249
	s_branch .LBB10_251
.LBB10_248:
	s_branch .LBB10_251
.LBB10_249:                             ; =>This Inner Loop Header: Depth=1
	v_mov_b32_e32 v0, 1
	s_and_saveexec_b64 s[14:15], s[4:5]
	s_cbranch_execz .LBB10_246
; %bb.250:                              ;   in Loop: Header=BB10_249 Depth=1
	global_load_dword v0, v[12:13], off offset:20 glc
	s_waitcnt vmcnt(0)
	buffer_invl2
	buffer_wbinvl1_vol
	v_and_b32_e32 v0, 1, v0
	s_branch .LBB10_246
.LBB10_251:
	global_load_dwordx2 v[8:9], v[14:15], off
	s_and_saveexec_b64 s[14:15], s[4:5]
	s_cbranch_execz .LBB10_254
; %bb.252:
	v_mov_b32_e32 v5, 0
	global_load_dwordx2 v[10:11], v5, s[10:11] offset:40
	global_load_dwordx2 v[12:13], v5, s[10:11] offset:24 glc
	global_load_dwordx2 v[14:15], v5, s[10:11]
	v_mov_b32_e32 v1, s13
	s_mov_b64 s[4:5], 0
	s_waitcnt vmcnt(2)
	v_add_co_u32_e32 v3, vcc, 1, v10
	v_addc_co_u32_e32 v16, vcc, 0, v11, vcc
	v_add_co_u32_e32 v0, vcc, s12, v3
	v_addc_co_u32_e32 v1, vcc, v16, v1, vcc
	v_cmp_eq_u64_e32 vcc, 0, v[0:1]
	v_cndmask_b32_e32 v1, v1, v16, vcc
	v_cndmask_b32_e32 v0, v0, v3, vcc
	v_and_b32_e32 v3, v1, v11
	v_and_b32_e32 v10, v0, v10
	v_mul_lo_u32 v3, v3, 24
	v_mul_hi_u32 v11, v10, 24
	v_mul_lo_u32 v10, v10, 24
	v_add_u32_e32 v3, v11, v3
	s_waitcnt vmcnt(0)
	v_add_co_u32_e32 v10, vcc, v14, v10
	v_addc_co_u32_e32 v11, vcc, v15, v3, vcc
	v_mov_b32_e32 v2, v12
	global_store_dwordx2 v[10:11], v[12:13], off
	v_mov_b32_e32 v3, v13
	buffer_wbl2
	s_waitcnt vmcnt(0)
	global_atomic_cmpswap_x2 v[2:3], v5, v[0:3], s[10:11] offset:24 glc
	s_waitcnt vmcnt(0)
	v_cmp_ne_u64_e32 vcc, v[2:3], v[12:13]
	s_and_b64 exec, exec, vcc
	s_cbranch_execz .LBB10_254
.LBB10_253:                             ; =>This Inner Loop Header: Depth=1
	s_sleep 1
	global_store_dwordx2 v[10:11], v[2:3], off
	buffer_wbl2
	s_waitcnt vmcnt(0)
	global_atomic_cmpswap_x2 v[12:13], v5, v[0:3], s[10:11] offset:24 glc
	s_waitcnt vmcnt(0)
	v_cmp_eq_u64_e32 vcc, v[12:13], v[2:3]
	s_or_b64 s[4:5], vcc, s[4:5]
	v_pk_mov_b32 v[2:3], v[12:13], v[12:13] op_sel:[0,1]
	s_andn2_b64 exec, exec, s[4:5]
	s_cbranch_execnz .LBB10_253
.LBB10_254:
	s_or_b64 exec, exec, s[14:15]
.LBB10_255:
	s_or_b64 exec, exec, s[6:7]
	v_readfirstlane_b32 s4, v53
	v_cmp_eq_u32_e64 s[4:5], s4, v53
	v_pk_mov_b32 v[12:13], 0, 0
	s_and_saveexec_b64 s[6:7], s[4:5]
	s_cbranch_execz .LBB10_261
; %bb.256:
	v_mov_b32_e32 v0, 0
	global_load_dwordx2 v[14:15], v0, s[10:11] offset:24 glc
	s_waitcnt vmcnt(0)
	buffer_invl2
	buffer_wbinvl1_vol
	global_load_dwordx2 v[2:3], v0, s[10:11] offset:40
	global_load_dwordx2 v[10:11], v0, s[10:11]
	s_waitcnt vmcnt(1)
	v_and_b32_e32 v1, v2, v14
	v_and_b32_e32 v2, v3, v15
	v_mul_lo_u32 v2, v2, 24
	v_mul_hi_u32 v3, v1, 24
	v_mul_lo_u32 v1, v1, 24
	v_add_u32_e32 v3, v3, v2
	s_waitcnt vmcnt(0)
	v_add_co_u32_e32 v2, vcc, v10, v1
	v_addc_co_u32_e32 v3, vcc, v11, v3, vcc
	global_load_dwordx2 v[12:13], v[2:3], off glc
	s_waitcnt vmcnt(0)
	global_atomic_cmpswap_x2 v[12:13], v0, v[12:15], s[10:11] offset:24 glc
	s_waitcnt vmcnt(0)
	buffer_invl2
	buffer_wbinvl1_vol
	v_cmp_ne_u64_e32 vcc, v[12:13], v[14:15]
	s_and_saveexec_b64 s[12:13], vcc
	s_cbranch_execz .LBB10_260
; %bb.257:
	s_mov_b64 s[14:15], 0
.LBB10_258:                             ; =>This Inner Loop Header: Depth=1
	s_sleep 1
	global_load_dwordx2 v[2:3], v0, s[10:11] offset:40
	global_load_dwordx2 v[10:11], v0, s[10:11]
	v_pk_mov_b32 v[14:15], v[12:13], v[12:13] op_sel:[0,1]
	s_waitcnt vmcnt(1)
	v_and_b32_e32 v2, v2, v14
	v_and_b32_e32 v1, v3, v15
	s_waitcnt vmcnt(0)
	v_mad_u64_u32 v[2:3], s[16:17], v2, 24, v[10:11]
	v_mov_b32_e32 v10, v3
	v_mad_u64_u32 v[10:11], s[16:17], v1, 24, v[10:11]
	v_mov_b32_e32 v3, v10
	global_load_dwordx2 v[12:13], v[2:3], off glc
	s_waitcnt vmcnt(0)
	global_atomic_cmpswap_x2 v[12:13], v0, v[12:15], s[10:11] offset:24 glc
	s_waitcnt vmcnt(0)
	buffer_invl2
	buffer_wbinvl1_vol
	v_cmp_eq_u64_e32 vcc, v[12:13], v[14:15]
	s_or_b64 s[14:15], vcc, s[14:15]
	s_andn2_b64 exec, exec, s[14:15]
	s_cbranch_execnz .LBB10_258
; %bb.259:
	s_or_b64 exec, exec, s[14:15]
.LBB10_260:
	s_or_b64 exec, exec, s[12:13]
.LBB10_261:
	s_or_b64 exec, exec, s[6:7]
	s_waitcnt vmcnt(0)
	v_mov_b32_e32 v11, 0
	global_load_dwordx2 v[14:15], v11, s[10:11] offset:40
	global_load_dwordx4 v[0:3], v11, s[10:11]
	v_readfirstlane_b32 s6, v12
	v_readfirstlane_b32 s7, v13
	s_mov_b64 s[12:13], exec
	s_waitcnt vmcnt(1)
	v_readfirstlane_b32 s14, v14
	v_readfirstlane_b32 s15, v15
	s_and_b64 s[14:15], s[6:7], s[14:15]
	s_mul_i32 s16, s15, 24
	s_mul_hi_u32 s17, s14, 24
	s_mul_i32 s18, s14, 24
	s_add_i32 s16, s17, s16
	v_mov_b32_e32 v5, s16
	s_waitcnt vmcnt(0)
	v_add_co_u32_e32 v12, vcc, s18, v0
	v_addc_co_u32_e32 v13, vcc, v1, v5, vcc
	s_and_saveexec_b64 s[16:17], s[4:5]
	s_cbranch_execz .LBB10_263
; %bb.262:
	v_pk_mov_b32 v[14:15], s[12:13], s[12:13] op_sel:[0,1]
	v_mov_b32_e32 v16, 2
	v_mov_b32_e32 v17, 1
	global_store_dwordx4 v[12:13], v[14:17], off offset:8
.LBB10_263:
	s_or_b64 exec, exec, s[16:17]
	s_lshl_b64 s[12:13], s[14:15], 12
	v_mov_b32_e32 v5, s13
	v_add_co_u32_e32 v2, vcc, s12, v2
	v_addc_co_u32_e32 v3, vcc, v3, v5, vcc
	s_mov_b32 s12, 0
	s_movk_i32 s13, 0xff1f
	v_and_or_b32 v8, v8, s13, 32
	v_add_co_u32_e32 v14, vcc, v2, v52
	s_mov_b32 s13, s12
	v_addc_co_u32_e32 v15, vcc, 0, v3, vcc
	v_mov_b32_e32 v10, v4
	v_readfirstlane_b32 s16, v2
	v_readfirstlane_b32 s17, v3
	s_mov_b32 s14, s12
	s_mov_b32 s15, s12
	v_pk_mov_b32 v[2:3], s[12:13], s[12:13] op_sel:[0,1]
	v_pk_mov_b32 v[4:5], s[14:15], s[14:15] op_sel:[0,1]
	s_nop 0
	global_store_dwordx4 v52, v[8:11], s[16:17]
	global_store_dwordx4 v52, v[2:5], s[16:17] offset:16
	global_store_dwordx4 v52, v[2:5], s[16:17] offset:32
	;; [unrolled: 1-line block ×3, first 2 shown]
	s_and_saveexec_b64 s[12:13], s[4:5]
	s_cbranch_execz .LBB10_271
; %bb.264:
	v_mov_b32_e32 v8, 0
	global_load_dwordx2 v[18:19], v8, s[10:11] offset:32 glc
	global_load_dwordx2 v[2:3], v8, s[10:11] offset:40
	v_mov_b32_e32 v16, s6
	v_mov_b32_e32 v17, s7
	s_waitcnt vmcnt(0)
	v_readfirstlane_b32 s14, v2
	v_readfirstlane_b32 s15, v3
	s_and_b64 s[14:15], s[14:15], s[6:7]
	s_mul_i32 s15, s15, 24
	s_mul_hi_u32 s16, s14, 24
	s_mul_i32 s14, s14, 24
	s_add_i32 s15, s16, s15
	v_mov_b32_e32 v2, s15
	v_add_co_u32_e32 v4, vcc, s14, v0
	v_addc_co_u32_e32 v5, vcc, v1, v2, vcc
	global_store_dwordx2 v[4:5], v[18:19], off
	buffer_wbl2
	s_waitcnt vmcnt(0)
	global_atomic_cmpswap_x2 v[2:3], v8, v[16:19], s[10:11] offset:32 glc
	s_waitcnt vmcnt(0)
	v_cmp_ne_u64_e32 vcc, v[2:3], v[18:19]
	s_and_saveexec_b64 s[14:15], vcc
	s_cbranch_execz .LBB10_267
; %bb.265:
	s_mov_b64 s[16:17], 0
.LBB10_266:                             ; =>This Inner Loop Header: Depth=1
	s_sleep 1
	global_store_dwordx2 v[4:5], v[2:3], off
	v_mov_b32_e32 v0, s6
	v_mov_b32_e32 v1, s7
	buffer_wbl2
	s_waitcnt vmcnt(0)
	global_atomic_cmpswap_x2 v[0:1], v8, v[0:3], s[10:11] offset:32 glc
	s_waitcnt vmcnt(0)
	v_cmp_eq_u64_e32 vcc, v[0:1], v[2:3]
	s_or_b64 s[16:17], vcc, s[16:17]
	v_pk_mov_b32 v[2:3], v[0:1], v[0:1] op_sel:[0,1]
	s_andn2_b64 exec, exec, s[16:17]
	s_cbranch_execnz .LBB10_266
.LBB10_267:
	s_or_b64 exec, exec, s[14:15]
	v_mov_b32_e32 v3, 0
	global_load_dwordx2 v[0:1], v3, s[10:11] offset:16
	s_mov_b64 s[14:15], exec
	v_mbcnt_lo_u32_b32 v2, s14, 0
	v_mbcnt_hi_u32_b32 v2, s15, v2
	v_cmp_eq_u32_e32 vcc, 0, v2
	s_and_saveexec_b64 s[16:17], vcc
	s_cbranch_execz .LBB10_269
; %bb.268:
	s_bcnt1_i32_b64 s14, s[14:15]
	v_mov_b32_e32 v2, s14
	buffer_wbl2
	s_waitcnt vmcnt(0)
	global_atomic_add_x2 v[0:1], v[2:3], off offset:8
.LBB10_269:
	s_or_b64 exec, exec, s[16:17]
	s_waitcnt vmcnt(0)
	global_load_dwordx2 v[2:3], v[0:1], off offset:16
	s_waitcnt vmcnt(0)
	v_cmp_eq_u64_e32 vcc, 0, v[2:3]
	s_cbranch_vccnz .LBB10_271
; %bb.270:
	global_load_dword v0, v[0:1], off offset:24
	v_mov_b32_e32 v1, 0
	buffer_wbl2
	s_waitcnt vmcnt(0)
	global_store_dwordx2 v[2:3], v[0:1], off
	v_and_b32_e32 v0, 0xffffff, v0
	v_readfirstlane_b32 m0, v0
	s_sendmsg sendmsg(MSG_INTERRUPT)
.LBB10_271:
	s_or_b64 exec, exec, s[12:13]
	s_branch .LBB10_275
.LBB10_272:                             ;   in Loop: Header=BB10_275 Depth=1
	s_or_b64 exec, exec, s[12:13]
	v_readfirstlane_b32 s12, v0
	s_cmp_eq_u32 s12, 0
	s_cbranch_scc1 .LBB10_274
; %bb.273:                              ;   in Loop: Header=BB10_275 Depth=1
	s_sleep 1
	s_cbranch_execnz .LBB10_275
	s_branch .LBB10_277
.LBB10_274:
	s_branch .LBB10_277
.LBB10_275:                             ; =>This Inner Loop Header: Depth=1
	v_mov_b32_e32 v0, 1
	s_and_saveexec_b64 s[12:13], s[4:5]
	s_cbranch_execz .LBB10_272
; %bb.276:                              ;   in Loop: Header=BB10_275 Depth=1
	global_load_dword v0, v[12:13], off offset:20 glc
	s_waitcnt vmcnt(0)
	buffer_invl2
	buffer_wbinvl1_vol
	v_and_b32_e32 v0, 1, v0
	s_branch .LBB10_272
.LBB10_277:
	global_load_dwordx2 v[0:1], v[14:15], off
	s_and_saveexec_b64 s[12:13], s[4:5]
	s_cbranch_execz .LBB10_280
; %bb.278:
	v_mov_b32_e32 v10, 0
	global_load_dwordx2 v[8:9], v10, s[10:11] offset:40
	global_load_dwordx2 v[12:13], v10, s[10:11] offset:24 glc
	global_load_dwordx2 v[14:15], v10, s[10:11]
	v_mov_b32_e32 v3, s7
	s_mov_b64 s[4:5], 0
	s_waitcnt vmcnt(2)
	v_add_co_u32_e32 v5, vcc, 1, v8
	v_addc_co_u32_e32 v11, vcc, 0, v9, vcc
	v_add_co_u32_e32 v2, vcc, s6, v5
	v_addc_co_u32_e32 v3, vcc, v11, v3, vcc
	v_cmp_eq_u64_e32 vcc, 0, v[2:3]
	v_cndmask_b32_e32 v3, v3, v11, vcc
	v_cndmask_b32_e32 v2, v2, v5, vcc
	v_and_b32_e32 v5, v3, v9
	v_and_b32_e32 v8, v2, v8
	v_mul_lo_u32 v5, v5, 24
	v_mul_hi_u32 v9, v8, 24
	v_mul_lo_u32 v8, v8, 24
	v_add_u32_e32 v5, v9, v5
	s_waitcnt vmcnt(0)
	v_add_co_u32_e32 v8, vcc, v14, v8
	v_addc_co_u32_e32 v9, vcc, v15, v5, vcc
	v_mov_b32_e32 v4, v12
	global_store_dwordx2 v[8:9], v[12:13], off
	v_mov_b32_e32 v5, v13
	buffer_wbl2
	s_waitcnt vmcnt(0)
	global_atomic_cmpswap_x2 v[4:5], v10, v[2:5], s[10:11] offset:24 glc
	s_waitcnt vmcnt(0)
	v_cmp_ne_u64_e32 vcc, v[4:5], v[12:13]
	s_and_b64 exec, exec, vcc
	s_cbranch_execz .LBB10_280
.LBB10_279:                             ; =>This Inner Loop Header: Depth=1
	s_sleep 1
	global_store_dwordx2 v[8:9], v[4:5], off
	buffer_wbl2
	s_waitcnt vmcnt(0)
	global_atomic_cmpswap_x2 v[12:13], v10, v[2:5], s[10:11] offset:24 glc
	s_waitcnt vmcnt(0)
	v_cmp_eq_u64_e32 vcc, v[12:13], v[4:5]
	s_or_b64 s[4:5], vcc, s[4:5]
	v_pk_mov_b32 v[4:5], v[12:13], v[12:13] op_sel:[0,1]
	s_andn2_b64 exec, exec, s[4:5]
	s_cbranch_execnz .LBB10_279
.LBB10_280:
	s_or_b64 exec, exec, s[12:13]
	s_mov_b64 s[4:5], 0
	v_pk_mov_b32 v[4:5], v[34:35], v[34:35] op_sel:[0,1]
.LBB10_281:                             ; =>This Inner Loop Header: Depth=1
	flat_load_ubyte v8, v[4:5]
	v_add_co_u32_e32 v2, vcc, 1, v4
	v_addc_co_u32_e32 v3, vcc, 0, v5, vcc
	v_pk_mov_b32 v[4:5], v[2:3], v[2:3] op_sel:[0,1]
	s_waitcnt vmcnt(0) lgkmcnt(0)
	v_cmp_eq_u16_e32 vcc, 0, v8
	s_or_b64 s[4:5], vcc, s[4:5]
	s_andn2_b64 exec, exec, s[4:5]
	s_cbranch_execnz .LBB10_281
; %bb.282:
	s_or_b64 exec, exec, s[4:5]
	s_mov_b64 s[6:7], 0
	v_cmp_ne_u64_e32 vcc, 0, v[34:35]
	s_and_saveexec_b64 s[4:5], vcc
	s_xor_b64 s[12:13], exec, s[4:5]
	s_cbranch_execz .LBB10_368
; %bb.283:
	v_sub_u32_e32 v28, v2, v34
	v_ashrrev_i32_e32 v29, 31, v28
	v_and_b32_e32 v30, 2, v0
	v_mov_b32_e32 v33, 0
	v_and_b32_e32 v0, -3, v0
	s_mov_b32 s22, 0
	s_movk_i32 s23, 0xff1f
	v_mov_b32_e32 v4, 2
	v_mov_b32_e32 v5, 1
	s_branch .LBB10_285
.LBB10_284:                             ;   in Loop: Header=BB10_285 Depth=1
	s_or_b64 exec, exec, s[16:17]
	v_sub_co_u32_e32 v28, vcc, v28, v36
	v_subb_co_u32_e32 v29, vcc, v29, v37, vcc
	v_cmp_eq_u64_e32 vcc, 0, v[28:29]
	s_or_b64 s[6:7], vcc, s[6:7]
	v_add_co_u32_e32 v34, vcc, v34, v36
	v_addc_co_u32_e32 v35, vcc, v35, v37, vcc
	s_andn2_b64 exec, exec, s[6:7]
	s_cbranch_execz .LBB10_367
.LBB10_285:                             ; =>This Loop Header: Depth=1
                                        ;     Child Loop BB10_288 Depth 2
                                        ;     Child Loop BB10_296 Depth 2
	;; [unrolled: 1-line block ×11, first 2 shown]
	v_cmp_gt_u64_e32 vcc, 56, v[28:29]
	v_cndmask_b32_e32 v37, 0, v29, vcc
	v_cndmask_b32_e32 v36, 56, v28, vcc
	v_cmp_gt_u64_e32 vcc, 8, v[28:29]
                                        ; implicit-def: $vgpr10_vgpr11
                                        ; implicit-def: $sgpr14
	s_and_saveexec_b64 s[4:5], vcc
	s_xor_b64 s[4:5], exec, s[4:5]
	s_cbranch_execz .LBB10_291
; %bb.286:                              ;   in Loop: Header=BB10_285 Depth=1
	s_mov_b64 s[16:17], 0
	v_cmp_ne_u64_e32 vcc, 0, v[28:29]
	v_pk_mov_b32 v[10:11], 0, 0
	s_and_saveexec_b64 s[14:15], vcc
	s_cbranch_execz .LBB10_290
; %bb.287:                              ;   in Loop: Header=BB10_285 Depth=1
	s_waitcnt vmcnt(0)
	v_lshlrev_b64 v[2:3], 3, v[36:37]
	v_pk_mov_b32 v[10:11], 0, 0
	v_pk_mov_b32 v[8:9], v[34:35], v[34:35] op_sel:[0,1]
	s_mov_b64 s[18:19], 0
.LBB10_288:                             ;   Parent Loop BB10_285 Depth=1
                                        ; =>  This Inner Loop Header: Depth=2
	flat_load_ubyte v3, v[8:9]
	v_mov_b32_e32 v13, s22
	v_add_co_u32_e32 v8, vcc, 1, v8
	v_addc_co_u32_e32 v9, vcc, 0, v9, vcc
	s_waitcnt vmcnt(0) lgkmcnt(0)
	v_and_b32_e32 v12, 0xffff, v3
	v_lshlrev_b64 v[12:13], s18, v[12:13]
	s_add_u32 s18, s18, 8
	s_addc_u32 s19, s19, 0
	v_cmp_eq_u32_e32 vcc, s18, v2
	v_or_b32_e32 v11, v13, v11
	s_or_b64 s[16:17], vcc, s[16:17]
	v_or_b32_e32 v10, v12, v10
	s_andn2_b64 exec, exec, s[16:17]
	s_cbranch_execnz .LBB10_288
; %bb.289:                              ;   in Loop: Header=BB10_285 Depth=1
	s_or_b64 exec, exec, s[16:17]
.LBB10_290:                             ;   in Loop: Header=BB10_285 Depth=1
	s_or_b64 exec, exec, s[14:15]
	s_mov_b32 s14, 0
.LBB10_291:                             ;   in Loop: Header=BB10_285 Depth=1
	s_or_saveexec_b64 s[4:5], s[4:5]
	v_mov_b32_e32 v8, s14
	s_waitcnt vmcnt(0)
	v_pk_mov_b32 v[2:3], v[34:35], v[34:35] op_sel:[0,1]
	s_xor_b64 exec, exec, s[4:5]
	s_cbranch_execz .LBB10_293
; %bb.292:                              ;   in Loop: Header=BB10_285 Depth=1
	flat_load_dwordx2 v[2:3], v[34:35]
	v_add_u32_e32 v8, -8, v36
	s_waitcnt vmcnt(0) lgkmcnt(0)
	v_and_b32_e32 v9, 0xff, v3
	v_and_b32_e32 v11, 0xff00, v3
	;; [unrolled: 1-line block ×4, first 2 shown]
	v_or3_b32 v10, v2, 0, 0
	v_or_b32_e32 v2, v9, v11
	v_or3_b32 v11, v2, v12, v3
	v_add_co_u32_e32 v2, vcc, 8, v34
	v_addc_co_u32_e32 v3, vcc, 0, v35, vcc
.LBB10_293:                             ;   in Loop: Header=BB10_285 Depth=1
	s_or_b64 exec, exec, s[4:5]
	v_cmp_gt_u32_e32 vcc, 8, v8
                                        ; implicit-def: $vgpr12_vgpr13
                                        ; implicit-def: $sgpr14
	s_and_saveexec_b64 s[4:5], vcc
	s_xor_b64 s[4:5], exec, s[4:5]
	s_cbranch_execz .LBB10_299
; %bb.294:                              ;   in Loop: Header=BB10_285 Depth=1
	v_cmp_ne_u32_e32 vcc, 0, v8
	v_pk_mov_b32 v[12:13], 0, 0
	s_and_saveexec_b64 s[14:15], vcc
	s_cbranch_execz .LBB10_298
; %bb.295:                              ;   in Loop: Header=BB10_285 Depth=1
	s_mov_b64 s[16:17], 0
	v_pk_mov_b32 v[12:13], 0, 0
	s_mov_b64 s[18:19], 0
	s_mov_b64 s[20:21], 0
.LBB10_296:                             ;   Parent Loop BB10_285 Depth=1
                                        ; =>  This Inner Loop Header: Depth=2
	v_mov_b32_e32 v9, s21
	v_add_co_u32_e32 v14, vcc, s20, v2
	v_addc_co_u32_e32 v15, vcc, v3, v9, vcc
	flat_load_ubyte v9, v[14:15]
	s_add_u32 s20, s20, 1
	v_mov_b32_e32 v15, s22
	s_addc_u32 s21, s21, 0
	v_cmp_eq_u32_e32 vcc, s20, v8
	s_waitcnt vmcnt(0) lgkmcnt(0)
	v_and_b32_e32 v14, 0xffff, v9
	v_lshlrev_b64 v[14:15], s18, v[14:15]
	s_add_u32 s18, s18, 8
	s_addc_u32 s19, s19, 0
	v_or_b32_e32 v13, v15, v13
	s_or_b64 s[16:17], vcc, s[16:17]
	v_or_b32_e32 v12, v14, v12
	s_andn2_b64 exec, exec, s[16:17]
	s_cbranch_execnz .LBB10_296
; %bb.297:                              ;   in Loop: Header=BB10_285 Depth=1
	s_or_b64 exec, exec, s[16:17]
.LBB10_298:                             ;   in Loop: Header=BB10_285 Depth=1
	s_or_b64 exec, exec, s[14:15]
	s_mov_b32 s14, 0
                                        ; implicit-def: $vgpr8
.LBB10_299:                             ;   in Loop: Header=BB10_285 Depth=1
	s_or_saveexec_b64 s[4:5], s[4:5]
	v_mov_b32_e32 v9, s14
	s_xor_b64 exec, exec, s[4:5]
	s_cbranch_execz .LBB10_301
; %bb.300:                              ;   in Loop: Header=BB10_285 Depth=1
	flat_load_dwordx2 v[12:13], v[2:3]
	v_add_u32_e32 v9, -8, v8
	v_add_co_u32_e32 v2, vcc, 8, v2
	v_addc_co_u32_e32 v3, vcc, 0, v3, vcc
	s_waitcnt vmcnt(0) lgkmcnt(0)
	v_and_b32_e32 v8, 0xff, v13
	v_and_b32_e32 v14, 0xff00, v13
	;; [unrolled: 1-line block ×4, first 2 shown]
	v_or_b32_e32 v8, v8, v14
	v_or3_b32 v12, v12, 0, 0
	v_or3_b32 v13, v8, v15, v13
.LBB10_301:                             ;   in Loop: Header=BB10_285 Depth=1
	s_or_b64 exec, exec, s[4:5]
	v_cmp_gt_u32_e32 vcc, 8, v9
                                        ; implicit-def: $sgpr14
	s_and_saveexec_b64 s[4:5], vcc
	s_xor_b64 s[4:5], exec, s[4:5]
	s_cbranch_execz .LBB10_307
; %bb.302:                              ;   in Loop: Header=BB10_285 Depth=1
	v_cmp_ne_u32_e32 vcc, 0, v9
	v_pk_mov_b32 v[14:15], 0, 0
	s_and_saveexec_b64 s[14:15], vcc
	s_cbranch_execz .LBB10_306
; %bb.303:                              ;   in Loop: Header=BB10_285 Depth=1
	s_mov_b64 s[16:17], 0
	v_pk_mov_b32 v[14:15], 0, 0
	s_mov_b64 s[18:19], 0
	s_mov_b64 s[20:21], 0
.LBB10_304:                             ;   Parent Loop BB10_285 Depth=1
                                        ; =>  This Inner Loop Header: Depth=2
	v_mov_b32_e32 v8, s21
	v_add_co_u32_e32 v16, vcc, s20, v2
	v_addc_co_u32_e32 v17, vcc, v3, v8, vcc
	flat_load_ubyte v8, v[16:17]
	s_add_u32 s20, s20, 1
	v_mov_b32_e32 v17, s22
	s_addc_u32 s21, s21, 0
	v_cmp_eq_u32_e32 vcc, s20, v9
	s_waitcnt vmcnt(0) lgkmcnt(0)
	v_and_b32_e32 v16, 0xffff, v8
	v_lshlrev_b64 v[16:17], s18, v[16:17]
	s_add_u32 s18, s18, 8
	s_addc_u32 s19, s19, 0
	v_or_b32_e32 v15, v17, v15
	s_or_b64 s[16:17], vcc, s[16:17]
	v_or_b32_e32 v14, v16, v14
	s_andn2_b64 exec, exec, s[16:17]
	s_cbranch_execnz .LBB10_304
; %bb.305:                              ;   in Loop: Header=BB10_285 Depth=1
	s_or_b64 exec, exec, s[16:17]
.LBB10_306:                             ;   in Loop: Header=BB10_285 Depth=1
	s_or_b64 exec, exec, s[14:15]
	s_mov_b32 s14, 0
                                        ; implicit-def: $vgpr9
.LBB10_307:                             ;   in Loop: Header=BB10_285 Depth=1
	s_or_saveexec_b64 s[4:5], s[4:5]
	v_mov_b32_e32 v8, s14
	s_xor_b64 exec, exec, s[4:5]
	s_cbranch_execz .LBB10_309
; %bb.308:                              ;   in Loop: Header=BB10_285 Depth=1
	flat_load_dwordx2 v[14:15], v[2:3]
	v_add_u32_e32 v8, -8, v9
	v_add_co_u32_e32 v2, vcc, 8, v2
	v_addc_co_u32_e32 v3, vcc, 0, v3, vcc
	s_waitcnt vmcnt(0) lgkmcnt(0)
	v_and_b32_e32 v9, 0xff, v15
	v_and_b32_e32 v16, 0xff00, v15
	;; [unrolled: 1-line block ×4, first 2 shown]
	v_or_b32_e32 v9, v9, v16
	v_or3_b32 v14, v14, 0, 0
	v_or3_b32 v15, v9, v17, v15
.LBB10_309:                             ;   in Loop: Header=BB10_285 Depth=1
	s_or_b64 exec, exec, s[4:5]
	v_cmp_gt_u32_e32 vcc, 8, v8
                                        ; implicit-def: $vgpr16_vgpr17
                                        ; implicit-def: $sgpr14
	s_and_saveexec_b64 s[4:5], vcc
	s_xor_b64 s[4:5], exec, s[4:5]
	s_cbranch_execz .LBB10_315
; %bb.310:                              ;   in Loop: Header=BB10_285 Depth=1
	v_cmp_ne_u32_e32 vcc, 0, v8
	v_pk_mov_b32 v[16:17], 0, 0
	s_and_saveexec_b64 s[14:15], vcc
	s_cbranch_execz .LBB10_314
; %bb.311:                              ;   in Loop: Header=BB10_285 Depth=1
	s_mov_b64 s[16:17], 0
	v_pk_mov_b32 v[16:17], 0, 0
	s_mov_b64 s[18:19], 0
	s_mov_b64 s[20:21], 0
.LBB10_312:                             ;   Parent Loop BB10_285 Depth=1
                                        ; =>  This Inner Loop Header: Depth=2
	v_mov_b32_e32 v9, s21
	v_add_co_u32_e32 v18, vcc, s20, v2
	v_addc_co_u32_e32 v19, vcc, v3, v9, vcc
	flat_load_ubyte v9, v[18:19]
	s_add_u32 s20, s20, 1
	v_mov_b32_e32 v19, s22
	s_addc_u32 s21, s21, 0
	v_cmp_eq_u32_e32 vcc, s20, v8
	s_waitcnt vmcnt(0) lgkmcnt(0)
	v_and_b32_e32 v18, 0xffff, v9
	v_lshlrev_b64 v[18:19], s18, v[18:19]
	s_add_u32 s18, s18, 8
	s_addc_u32 s19, s19, 0
	v_or_b32_e32 v17, v19, v17
	s_or_b64 s[16:17], vcc, s[16:17]
	v_or_b32_e32 v16, v18, v16
	s_andn2_b64 exec, exec, s[16:17]
	s_cbranch_execnz .LBB10_312
; %bb.313:                              ;   in Loop: Header=BB10_285 Depth=1
	s_or_b64 exec, exec, s[16:17]
.LBB10_314:                             ;   in Loop: Header=BB10_285 Depth=1
	s_or_b64 exec, exec, s[14:15]
	s_mov_b32 s14, 0
                                        ; implicit-def: $vgpr8
.LBB10_315:                             ;   in Loop: Header=BB10_285 Depth=1
	s_or_saveexec_b64 s[4:5], s[4:5]
	v_mov_b32_e32 v9, s14
	s_xor_b64 exec, exec, s[4:5]
	s_cbranch_execz .LBB10_317
; %bb.316:                              ;   in Loop: Header=BB10_285 Depth=1
	flat_load_dwordx2 v[16:17], v[2:3]
	v_add_u32_e32 v9, -8, v8
	v_add_co_u32_e32 v2, vcc, 8, v2
	v_addc_co_u32_e32 v3, vcc, 0, v3, vcc
	s_waitcnt vmcnt(0) lgkmcnt(0)
	v_and_b32_e32 v8, 0xff, v17
	v_and_b32_e32 v18, 0xff00, v17
	;; [unrolled: 1-line block ×4, first 2 shown]
	v_or_b32_e32 v8, v8, v18
	v_or3_b32 v16, v16, 0, 0
	v_or3_b32 v17, v8, v19, v17
.LBB10_317:                             ;   in Loop: Header=BB10_285 Depth=1
	s_or_b64 exec, exec, s[4:5]
	v_cmp_gt_u32_e32 vcc, 8, v9
                                        ; implicit-def: $sgpr14
	s_and_saveexec_b64 s[4:5], vcc
	s_xor_b64 s[4:5], exec, s[4:5]
	s_cbranch_execz .LBB10_323
; %bb.318:                              ;   in Loop: Header=BB10_285 Depth=1
	v_cmp_ne_u32_e32 vcc, 0, v9
	v_pk_mov_b32 v[18:19], 0, 0
	s_and_saveexec_b64 s[14:15], vcc
	s_cbranch_execz .LBB10_322
; %bb.319:                              ;   in Loop: Header=BB10_285 Depth=1
	s_mov_b64 s[16:17], 0
	v_pk_mov_b32 v[18:19], 0, 0
	s_mov_b64 s[18:19], 0
	s_mov_b64 s[20:21], 0
.LBB10_320:                             ;   Parent Loop BB10_285 Depth=1
                                        ; =>  This Inner Loop Header: Depth=2
	v_mov_b32_e32 v8, s21
	v_add_co_u32_e32 v20, vcc, s20, v2
	v_addc_co_u32_e32 v21, vcc, v3, v8, vcc
	flat_load_ubyte v8, v[20:21]
	s_add_u32 s20, s20, 1
	v_mov_b32_e32 v21, s22
	s_addc_u32 s21, s21, 0
	v_cmp_eq_u32_e32 vcc, s20, v9
	s_waitcnt vmcnt(0) lgkmcnt(0)
	v_and_b32_e32 v20, 0xffff, v8
	v_lshlrev_b64 v[20:21], s18, v[20:21]
	s_add_u32 s18, s18, 8
	s_addc_u32 s19, s19, 0
	v_or_b32_e32 v19, v21, v19
	s_or_b64 s[16:17], vcc, s[16:17]
	v_or_b32_e32 v18, v20, v18
	s_andn2_b64 exec, exec, s[16:17]
	s_cbranch_execnz .LBB10_320
; %bb.321:                              ;   in Loop: Header=BB10_285 Depth=1
	s_or_b64 exec, exec, s[16:17]
.LBB10_322:                             ;   in Loop: Header=BB10_285 Depth=1
	s_or_b64 exec, exec, s[14:15]
	s_mov_b32 s14, 0
                                        ; implicit-def: $vgpr9
.LBB10_323:                             ;   in Loop: Header=BB10_285 Depth=1
	s_or_saveexec_b64 s[4:5], s[4:5]
	v_mov_b32_e32 v8, s14
	s_xor_b64 exec, exec, s[4:5]
	s_cbranch_execz .LBB10_325
; %bb.324:                              ;   in Loop: Header=BB10_285 Depth=1
	flat_load_dwordx2 v[18:19], v[2:3]
	v_add_u32_e32 v8, -8, v9
	v_add_co_u32_e32 v2, vcc, 8, v2
	v_addc_co_u32_e32 v3, vcc, 0, v3, vcc
	s_waitcnt vmcnt(0) lgkmcnt(0)
	v_and_b32_e32 v9, 0xff, v19
	v_and_b32_e32 v20, 0xff00, v19
	;; [unrolled: 1-line block ×4, first 2 shown]
	v_or_b32_e32 v9, v9, v20
	v_or3_b32 v18, v18, 0, 0
	v_or3_b32 v19, v9, v21, v19
.LBB10_325:                             ;   in Loop: Header=BB10_285 Depth=1
	s_or_b64 exec, exec, s[4:5]
	v_cmp_gt_u32_e32 vcc, 8, v8
                                        ; implicit-def: $vgpr20_vgpr21
                                        ; implicit-def: $sgpr14
	s_and_saveexec_b64 s[4:5], vcc
	s_xor_b64 s[4:5], exec, s[4:5]
	s_cbranch_execz .LBB10_331
; %bb.326:                              ;   in Loop: Header=BB10_285 Depth=1
	v_cmp_ne_u32_e32 vcc, 0, v8
	v_pk_mov_b32 v[20:21], 0, 0
	s_and_saveexec_b64 s[14:15], vcc
	s_cbranch_execz .LBB10_330
; %bb.327:                              ;   in Loop: Header=BB10_285 Depth=1
	s_mov_b64 s[16:17], 0
	v_pk_mov_b32 v[20:21], 0, 0
	s_mov_b64 s[18:19], 0
	s_mov_b64 s[20:21], 0
.LBB10_328:                             ;   Parent Loop BB10_285 Depth=1
                                        ; =>  This Inner Loop Header: Depth=2
	v_mov_b32_e32 v9, s21
	v_add_co_u32_e32 v22, vcc, s20, v2
	v_addc_co_u32_e32 v23, vcc, v3, v9, vcc
	flat_load_ubyte v9, v[22:23]
	s_add_u32 s20, s20, 1
	v_mov_b32_e32 v23, s22
	s_addc_u32 s21, s21, 0
	v_cmp_eq_u32_e32 vcc, s20, v8
	s_waitcnt vmcnt(0) lgkmcnt(0)
	v_and_b32_e32 v22, 0xffff, v9
	v_lshlrev_b64 v[22:23], s18, v[22:23]
	s_add_u32 s18, s18, 8
	s_addc_u32 s19, s19, 0
	v_or_b32_e32 v21, v23, v21
	s_or_b64 s[16:17], vcc, s[16:17]
	v_or_b32_e32 v20, v22, v20
	s_andn2_b64 exec, exec, s[16:17]
	s_cbranch_execnz .LBB10_328
; %bb.329:                              ;   in Loop: Header=BB10_285 Depth=1
	s_or_b64 exec, exec, s[16:17]
.LBB10_330:                             ;   in Loop: Header=BB10_285 Depth=1
	s_or_b64 exec, exec, s[14:15]
	s_mov_b32 s14, 0
                                        ; implicit-def: $vgpr8
.LBB10_331:                             ;   in Loop: Header=BB10_285 Depth=1
	s_or_saveexec_b64 s[4:5], s[4:5]
	v_mov_b32_e32 v9, s14
	s_xor_b64 exec, exec, s[4:5]
	s_cbranch_execz .LBB10_333
; %bb.332:                              ;   in Loop: Header=BB10_285 Depth=1
	flat_load_dwordx2 v[20:21], v[2:3]
	v_add_u32_e32 v9, -8, v8
	v_add_co_u32_e32 v2, vcc, 8, v2
	v_addc_co_u32_e32 v3, vcc, 0, v3, vcc
	s_waitcnt vmcnt(0) lgkmcnt(0)
	v_and_b32_e32 v8, 0xff, v21
	v_and_b32_e32 v22, 0xff00, v21
	;; [unrolled: 1-line block ×4, first 2 shown]
	v_or_b32_e32 v8, v8, v22
	v_or3_b32 v20, v20, 0, 0
	v_or3_b32 v21, v8, v23, v21
.LBB10_333:                             ;   in Loop: Header=BB10_285 Depth=1
	s_or_b64 exec, exec, s[4:5]
	v_cmp_gt_u32_e32 vcc, 8, v9
	s_and_saveexec_b64 s[4:5], vcc
	s_xor_b64 s[4:5], exec, s[4:5]
	s_cbranch_execz .LBB10_339
; %bb.334:                              ;   in Loop: Header=BB10_285 Depth=1
	v_cmp_ne_u32_e32 vcc, 0, v9
	v_pk_mov_b32 v[22:23], 0, 0
	s_and_saveexec_b64 s[14:15], vcc
	s_cbranch_execz .LBB10_338
; %bb.335:                              ;   in Loop: Header=BB10_285 Depth=1
	s_mov_b64 s[16:17], 0
	v_pk_mov_b32 v[22:23], 0, 0
	s_mov_b64 s[18:19], 0
.LBB10_336:                             ;   Parent Loop BB10_285 Depth=1
                                        ; =>  This Inner Loop Header: Depth=2
	flat_load_ubyte v8, v[2:3]
	v_mov_b32_e32 v25, s22
	v_add_co_u32_e32 v2, vcc, 1, v2
	v_add_u32_e32 v9, -1, v9
	v_addc_co_u32_e32 v3, vcc, 0, v3, vcc
	v_cmp_eq_u32_e32 vcc, 0, v9
	s_waitcnt vmcnt(0) lgkmcnt(0)
	v_and_b32_e32 v24, 0xffff, v8
	v_lshlrev_b64 v[24:25], s18, v[24:25]
	s_add_u32 s18, s18, 8
	s_addc_u32 s19, s19, 0
	v_or_b32_e32 v23, v25, v23
	s_or_b64 s[16:17], vcc, s[16:17]
	v_or_b32_e32 v22, v24, v22
	s_andn2_b64 exec, exec, s[16:17]
	s_cbranch_execnz .LBB10_336
; %bb.337:                              ;   in Loop: Header=BB10_285 Depth=1
	s_or_b64 exec, exec, s[16:17]
.LBB10_338:                             ;   in Loop: Header=BB10_285 Depth=1
	s_or_b64 exec, exec, s[14:15]
                                        ; implicit-def: $vgpr2_vgpr3
.LBB10_339:                             ;   in Loop: Header=BB10_285 Depth=1
	s_andn2_saveexec_b64 s[4:5], s[4:5]
	s_cbranch_execz .LBB10_341
; %bb.340:                              ;   in Loop: Header=BB10_285 Depth=1
	flat_load_dwordx2 v[2:3], v[2:3]
	s_waitcnt vmcnt(0) lgkmcnt(0)
	v_and_b32_e32 v8, 0xff, v3
	v_and_b32_e32 v9, 0xff00, v3
	;; [unrolled: 1-line block ×4, first 2 shown]
	v_or_b32_e32 v8, v8, v9
	v_or3_b32 v23, v8, v22, v3
	v_or3_b32 v22, v2, 0, 0
.LBB10_341:                             ;   in Loop: Header=BB10_285 Depth=1
	s_or_b64 exec, exec, s[4:5]
	v_readfirstlane_b32 s4, v53
	v_cmp_eq_u32_e64 s[4:5], s4, v53
	v_pk_mov_b32 v[2:3], 0, 0
	s_and_saveexec_b64 s[14:15], s[4:5]
	s_cbranch_execz .LBB10_347
; %bb.342:                              ;   in Loop: Header=BB10_285 Depth=1
	global_load_dwordx2 v[26:27], v33, s[10:11] offset:24 glc
	s_waitcnt vmcnt(0)
	buffer_invl2
	buffer_wbinvl1_vol
	global_load_dwordx2 v[2:3], v33, s[10:11] offset:40
	global_load_dwordx2 v[8:9], v33, s[10:11]
	s_waitcnt vmcnt(1)
	v_and_b32_e32 v2, v2, v26
	v_and_b32_e32 v3, v3, v27
	v_mul_lo_u32 v3, v3, 24
	v_mul_hi_u32 v24, v2, 24
	v_mul_lo_u32 v2, v2, 24
	v_add_u32_e32 v3, v24, v3
	s_waitcnt vmcnt(0)
	v_add_co_u32_e32 v2, vcc, v8, v2
	v_addc_co_u32_e32 v3, vcc, v9, v3, vcc
	global_load_dwordx2 v[24:25], v[2:3], off glc
	s_waitcnt vmcnt(0)
	global_atomic_cmpswap_x2 v[2:3], v33, v[24:27], s[10:11] offset:24 glc
	s_waitcnt vmcnt(0)
	buffer_invl2
	buffer_wbinvl1_vol
	v_cmp_ne_u64_e32 vcc, v[2:3], v[26:27]
	s_and_saveexec_b64 s[16:17], vcc
	s_cbranch_execz .LBB10_346
; %bb.343:                              ;   in Loop: Header=BB10_285 Depth=1
	s_mov_b64 s[18:19], 0
.LBB10_344:                             ;   Parent Loop BB10_285 Depth=1
                                        ; =>  This Inner Loop Header: Depth=2
	s_sleep 1
	global_load_dwordx2 v[8:9], v33, s[10:11] offset:40
	global_load_dwordx2 v[24:25], v33, s[10:11]
	v_pk_mov_b32 v[26:27], v[2:3], v[2:3] op_sel:[0,1]
	s_waitcnt vmcnt(1)
	v_and_b32_e32 v2, v8, v26
	s_waitcnt vmcnt(0)
	v_mad_u64_u32 v[2:3], s[20:21], v2, 24, v[24:25]
	v_and_b32_e32 v9, v9, v27
	v_mov_b32_e32 v8, v3
	v_mad_u64_u32 v[8:9], s[20:21], v9, 24, v[8:9]
	v_mov_b32_e32 v3, v8
	global_load_dwordx2 v[24:25], v[2:3], off glc
	s_waitcnt vmcnt(0)
	global_atomic_cmpswap_x2 v[2:3], v33, v[24:27], s[10:11] offset:24 glc
	s_waitcnt vmcnt(0)
	buffer_invl2
	buffer_wbinvl1_vol
	v_cmp_eq_u64_e32 vcc, v[2:3], v[26:27]
	s_or_b64 s[18:19], vcc, s[18:19]
	s_andn2_b64 exec, exec, s[18:19]
	s_cbranch_execnz .LBB10_344
; %bb.345:                              ;   in Loop: Header=BB10_285 Depth=1
	s_or_b64 exec, exec, s[18:19]
.LBB10_346:                             ;   in Loop: Header=BB10_285 Depth=1
	s_or_b64 exec, exec, s[16:17]
.LBB10_347:                             ;   in Loop: Header=BB10_285 Depth=1
	s_or_b64 exec, exec, s[14:15]
	global_load_dwordx2 v[8:9], v33, s[10:11] offset:40
	global_load_dwordx4 v[24:27], v33, s[10:11]
	v_readfirstlane_b32 s14, v2
	v_readfirstlane_b32 s15, v3
	s_mov_b64 s[16:17], exec
	s_waitcnt vmcnt(1)
	v_readfirstlane_b32 s18, v8
	v_readfirstlane_b32 s19, v9
	s_and_b64 s[18:19], s[14:15], s[18:19]
	s_mul_i32 s20, s19, 24
	s_mul_hi_u32 s21, s18, 24
	s_mul_i32 s24, s18, 24
	s_add_i32 s20, s21, s20
	v_mov_b32_e32 v2, s20
	s_waitcnt vmcnt(0)
	v_add_co_u32_e32 v38, vcc, s24, v24
	v_addc_co_u32_e32 v39, vcc, v25, v2, vcc
	s_and_saveexec_b64 s[20:21], s[4:5]
	s_cbranch_execz .LBB10_349
; %bb.348:                              ;   in Loop: Header=BB10_285 Depth=1
	v_pk_mov_b32 v[2:3], s[16:17], s[16:17] op_sel:[0,1]
	global_store_dwordx4 v[38:39], v[2:5], off offset:8
.LBB10_349:                             ;   in Loop: Header=BB10_285 Depth=1
	s_or_b64 exec, exec, s[20:21]
	s_lshl_b64 s[16:17], s[18:19], 12
	v_mov_b32_e32 v2, s17
	v_add_co_u32_e32 v26, vcc, s16, v26
	v_addc_co_u32_e32 v27, vcc, v27, v2, vcc
	v_or_b32_e32 v2, 0, v1
	v_cmp_lt_u64_e32 vcc, 56, v[28:29]
	v_or_b32_e32 v3, v0, v30
	v_cndmask_b32_e32 v9, v2, v1, vcc
	v_lshl_add_u32 v1, v36, 2, 28
	v_cndmask_b32_e32 v0, v3, v0, vcc
	v_and_b32_e32 v1, 0x1e0, v1
	v_and_or_b32 v8, v0, s23, v1
	v_readfirstlane_b32 s16, v26
	v_readfirstlane_b32 s17, v27
	s_nop 4
	global_store_dwordx4 v52, v[8:11], s[16:17]
	global_store_dwordx4 v52, v[12:15], s[16:17] offset:16
	global_store_dwordx4 v52, v[16:19], s[16:17] offset:32
	;; [unrolled: 1-line block ×3, first 2 shown]
	s_and_saveexec_b64 s[16:17], s[4:5]
	s_cbranch_execz .LBB10_357
; %bb.350:                              ;   in Loop: Header=BB10_285 Depth=1
	global_load_dwordx2 v[12:13], v33, s[10:11] offset:32 glc
	global_load_dwordx2 v[0:1], v33, s[10:11] offset:40
	v_mov_b32_e32 v10, s14
	v_mov_b32_e32 v11, s15
	s_waitcnt vmcnt(0)
	v_readfirstlane_b32 s18, v0
	v_readfirstlane_b32 s19, v1
	s_and_b64 s[18:19], s[18:19], s[14:15]
	s_mul_i32 s19, s19, 24
	s_mul_hi_u32 s20, s18, 24
	s_mul_i32 s18, s18, 24
	s_add_i32 s19, s20, s19
	v_mov_b32_e32 v0, s19
	v_add_co_u32_e32 v8, vcc, s18, v24
	v_addc_co_u32_e32 v9, vcc, v25, v0, vcc
	global_store_dwordx2 v[8:9], v[12:13], off
	buffer_wbl2
	s_waitcnt vmcnt(0)
	global_atomic_cmpswap_x2 v[2:3], v33, v[10:13], s[10:11] offset:32 glc
	s_waitcnt vmcnt(0)
	v_cmp_ne_u64_e32 vcc, v[2:3], v[12:13]
	s_and_saveexec_b64 s[18:19], vcc
	s_cbranch_execz .LBB10_353
; %bb.351:                              ;   in Loop: Header=BB10_285 Depth=1
	s_mov_b64 s[20:21], 0
.LBB10_352:                             ;   Parent Loop BB10_285 Depth=1
                                        ; =>  This Inner Loop Header: Depth=2
	s_sleep 1
	global_store_dwordx2 v[8:9], v[2:3], off
	v_mov_b32_e32 v0, s14
	v_mov_b32_e32 v1, s15
	buffer_wbl2
	s_waitcnt vmcnt(0)
	global_atomic_cmpswap_x2 v[0:1], v33, v[0:3], s[10:11] offset:32 glc
	s_waitcnt vmcnt(0)
	v_cmp_eq_u64_e32 vcc, v[0:1], v[2:3]
	s_or_b64 s[20:21], vcc, s[20:21]
	v_pk_mov_b32 v[2:3], v[0:1], v[0:1] op_sel:[0,1]
	s_andn2_b64 exec, exec, s[20:21]
	s_cbranch_execnz .LBB10_352
.LBB10_353:                             ;   in Loop: Header=BB10_285 Depth=1
	s_or_b64 exec, exec, s[18:19]
	global_load_dwordx2 v[0:1], v33, s[10:11] offset:16
	s_mov_b64 s[20:21], exec
	v_mbcnt_lo_u32_b32 v2, s20, 0
	v_mbcnt_hi_u32_b32 v2, s21, v2
	v_cmp_eq_u32_e32 vcc, 0, v2
	s_and_saveexec_b64 s[18:19], vcc
	s_cbranch_execz .LBB10_355
; %bb.354:                              ;   in Loop: Header=BB10_285 Depth=1
	s_bcnt1_i32_b64 s20, s[20:21]
	v_mov_b32_e32 v32, s20
	buffer_wbl2
	s_waitcnt vmcnt(0)
	global_atomic_add_x2 v[0:1], v[32:33], off offset:8
.LBB10_355:                             ;   in Loop: Header=BB10_285 Depth=1
	s_or_b64 exec, exec, s[18:19]
	s_waitcnt vmcnt(0)
	global_load_dwordx2 v[2:3], v[0:1], off offset:16
	s_waitcnt vmcnt(0)
	v_cmp_eq_u64_e32 vcc, 0, v[2:3]
	s_cbranch_vccnz .LBB10_357
; %bb.356:                              ;   in Loop: Header=BB10_285 Depth=1
	global_load_dword v32, v[0:1], off offset:24
	s_waitcnt vmcnt(0)
	v_and_b32_e32 v0, 0xffffff, v32
	v_readfirstlane_b32 m0, v0
	buffer_wbl2
	global_store_dwordx2 v[2:3], v[32:33], off
	s_sendmsg sendmsg(MSG_INTERRUPT)
.LBB10_357:                             ;   in Loop: Header=BB10_285 Depth=1
	s_or_b64 exec, exec, s[16:17]
	v_add_co_u32_e32 v0, vcc, v26, v52
	v_addc_co_u32_e32 v1, vcc, 0, v27, vcc
	s_branch .LBB10_361
.LBB10_358:                             ;   in Loop: Header=BB10_361 Depth=2
	s_or_b64 exec, exec, s[16:17]
	v_readfirstlane_b32 s16, v2
	s_cmp_eq_u32 s16, 0
	s_cbranch_scc1 .LBB10_360
; %bb.359:                              ;   in Loop: Header=BB10_361 Depth=2
	s_sleep 1
	s_cbranch_execnz .LBB10_361
	s_branch .LBB10_363
.LBB10_360:                             ;   in Loop: Header=BB10_285 Depth=1
	s_branch .LBB10_363
.LBB10_361:                             ;   Parent Loop BB10_285 Depth=1
                                        ; =>  This Inner Loop Header: Depth=2
	v_mov_b32_e32 v2, 1
	s_and_saveexec_b64 s[16:17], s[4:5]
	s_cbranch_execz .LBB10_358
; %bb.362:                              ;   in Loop: Header=BB10_361 Depth=2
	global_load_dword v2, v[38:39], off offset:20 glc
	s_waitcnt vmcnt(0)
	buffer_invl2
	buffer_wbinvl1_vol
	v_and_b32_e32 v2, 1, v2
	s_branch .LBB10_358
.LBB10_363:                             ;   in Loop: Header=BB10_285 Depth=1
	global_load_dwordx4 v[0:3], v[0:1], off
	s_and_saveexec_b64 s[16:17], s[4:5]
	s_cbranch_execz .LBB10_284
; %bb.364:                              ;   in Loop: Header=BB10_285 Depth=1
	global_load_dwordx2 v[2:3], v33, s[10:11] offset:40
	global_load_dwordx2 v[12:13], v33, s[10:11] offset:24 glc
	global_load_dwordx2 v[14:15], v33, s[10:11]
	v_mov_b32_e32 v9, s15
	s_waitcnt vmcnt(2)
	v_add_co_u32_e32 v11, vcc, 1, v2
	v_addc_co_u32_e32 v16, vcc, 0, v3, vcc
	v_add_co_u32_e32 v8, vcc, s14, v11
	v_addc_co_u32_e32 v9, vcc, v16, v9, vcc
	v_cmp_eq_u64_e32 vcc, 0, v[8:9]
	v_cndmask_b32_e32 v9, v9, v16, vcc
	v_cndmask_b32_e32 v8, v8, v11, vcc
	v_and_b32_e32 v3, v9, v3
	v_and_b32_e32 v2, v8, v2
	v_mul_lo_u32 v3, v3, 24
	v_mul_hi_u32 v11, v2, 24
	v_mul_lo_u32 v2, v2, 24
	v_add_u32_e32 v3, v11, v3
	s_waitcnt vmcnt(0)
	v_add_co_u32_e32 v2, vcc, v14, v2
	v_addc_co_u32_e32 v3, vcc, v15, v3, vcc
	v_mov_b32_e32 v10, v12
	global_store_dwordx2 v[2:3], v[12:13], off
	v_mov_b32_e32 v11, v13
	buffer_wbl2
	s_waitcnt vmcnt(0)
	global_atomic_cmpswap_x2 v[10:11], v33, v[8:11], s[10:11] offset:24 glc
	s_waitcnt vmcnt(0)
	v_cmp_ne_u64_e32 vcc, v[10:11], v[12:13]
	s_and_b64 exec, exec, vcc
	s_cbranch_execz .LBB10_284
; %bb.365:                              ;   in Loop: Header=BB10_285 Depth=1
	s_mov_b64 s[4:5], 0
.LBB10_366:                             ;   Parent Loop BB10_285 Depth=1
                                        ; =>  This Inner Loop Header: Depth=2
	s_sleep 1
	global_store_dwordx2 v[2:3], v[10:11], off
	buffer_wbl2
	s_waitcnt vmcnt(0)
	global_atomic_cmpswap_x2 v[12:13], v33, v[8:11], s[10:11] offset:24 glc
	s_waitcnt vmcnt(0)
	v_cmp_eq_u64_e32 vcc, v[12:13], v[10:11]
	s_or_b64 s[4:5], vcc, s[4:5]
	v_pk_mov_b32 v[10:11], v[12:13], v[12:13] op_sel:[0,1]
	s_andn2_b64 exec, exec, s[4:5]
	s_cbranch_execnz .LBB10_366
	s_branch .LBB10_284
.LBB10_367:
	s_or_b64 exec, exec, s[6:7]
                                        ; implicit-def: $vgpr52
                                        ; implicit-def: $vgpr53
.LBB10_368:
	s_andn2_saveexec_b64 s[6:7], s[12:13]
	s_cbranch_execz .LBB10_395
; %bb.369:
	v_readfirstlane_b32 s4, v53
	v_cmp_eq_u32_e64 s[4:5], s4, v53
	v_pk_mov_b32 v[4:5], 0, 0
	s_and_saveexec_b64 s[12:13], s[4:5]
	s_cbranch_execz .LBB10_375
; %bb.370:
	s_waitcnt vmcnt(0)
	v_mov_b32_e32 v2, 0
	global_load_dwordx2 v[10:11], v2, s[10:11] offset:24 glc
	s_waitcnt vmcnt(0)
	buffer_invl2
	buffer_wbinvl1_vol
	global_load_dwordx2 v[4:5], v2, s[10:11] offset:40
	global_load_dwordx2 v[8:9], v2, s[10:11]
	s_waitcnt vmcnt(1)
	v_and_b32_e32 v3, v4, v10
	v_and_b32_e32 v4, v5, v11
	v_mul_lo_u32 v4, v4, 24
	v_mul_hi_u32 v5, v3, 24
	v_mul_lo_u32 v3, v3, 24
	v_add_u32_e32 v5, v5, v4
	s_waitcnt vmcnt(0)
	v_add_co_u32_e32 v4, vcc, v8, v3
	v_addc_co_u32_e32 v5, vcc, v9, v5, vcc
	global_load_dwordx2 v[8:9], v[4:5], off glc
	s_waitcnt vmcnt(0)
	global_atomic_cmpswap_x2 v[4:5], v2, v[8:11], s[10:11] offset:24 glc
	s_waitcnt vmcnt(0)
	buffer_invl2
	buffer_wbinvl1_vol
	v_cmp_ne_u64_e32 vcc, v[4:5], v[10:11]
	s_and_saveexec_b64 s[14:15], vcc
	s_cbranch_execz .LBB10_374
; %bb.371:
	s_mov_b64 s[16:17], 0
.LBB10_372:                             ; =>This Inner Loop Header: Depth=1
	s_sleep 1
	global_load_dwordx2 v[8:9], v2, s[10:11] offset:40
	global_load_dwordx2 v[12:13], v2, s[10:11]
	v_pk_mov_b32 v[10:11], v[4:5], v[4:5] op_sel:[0,1]
	s_waitcnt vmcnt(1)
	v_and_b32_e32 v4, v8, v10
	s_waitcnt vmcnt(0)
	v_mad_u64_u32 v[4:5], s[18:19], v4, 24, v[12:13]
	v_and_b32_e32 v3, v9, v11
	v_mov_b32_e32 v8, v5
	v_mad_u64_u32 v[8:9], s[18:19], v3, 24, v[8:9]
	v_mov_b32_e32 v5, v8
	global_load_dwordx2 v[8:9], v[4:5], off glc
	s_waitcnt vmcnt(0)
	global_atomic_cmpswap_x2 v[4:5], v2, v[8:11], s[10:11] offset:24 glc
	s_waitcnt vmcnt(0)
	buffer_invl2
	buffer_wbinvl1_vol
	v_cmp_eq_u64_e32 vcc, v[4:5], v[10:11]
	s_or_b64 s[16:17], vcc, s[16:17]
	s_andn2_b64 exec, exec, s[16:17]
	s_cbranch_execnz .LBB10_372
; %bb.373:
	s_or_b64 exec, exec, s[16:17]
.LBB10_374:
	s_or_b64 exec, exec, s[14:15]
.LBB10_375:
	s_or_b64 exec, exec, s[12:13]
	s_waitcnt vmcnt(0)
	v_mov_b32_e32 v2, 0
	global_load_dwordx2 v[12:13], v2, s[10:11] offset:40
	global_load_dwordx4 v[8:11], v2, s[10:11]
	v_readfirstlane_b32 s12, v4
	v_readfirstlane_b32 s13, v5
	s_mov_b64 s[14:15], exec
	s_waitcnt vmcnt(1)
	v_readfirstlane_b32 s16, v12
	v_readfirstlane_b32 s17, v13
	s_and_b64 s[16:17], s[12:13], s[16:17]
	s_mul_i32 s18, s17, 24
	s_mul_hi_u32 s19, s16, 24
	s_mul_i32 s20, s16, 24
	s_add_i32 s18, s19, s18
	v_mov_b32_e32 v3, s18
	s_waitcnt vmcnt(0)
	v_add_co_u32_e32 v4, vcc, s20, v8
	v_addc_co_u32_e32 v5, vcc, v9, v3, vcc
	s_and_saveexec_b64 s[18:19], s[4:5]
	s_cbranch_execz .LBB10_377
; %bb.376:
	v_pk_mov_b32 v[12:13], s[14:15], s[14:15] op_sel:[0,1]
	v_mov_b32_e32 v14, 2
	v_mov_b32_e32 v15, 1
	global_store_dwordx4 v[4:5], v[12:15], off offset:8
.LBB10_377:
	s_or_b64 exec, exec, s[18:19]
	s_lshl_b64 s[14:15], s[16:17], 12
	v_mov_b32_e32 v3, s15
	v_add_co_u32_e32 v12, vcc, s14, v10
	v_addc_co_u32_e32 v13, vcc, v11, v3, vcc
	s_movk_i32 s14, 0xff1f
	s_mov_b32 s16, 0
	v_and_or_b32 v0, v0, s14, 32
	v_mov_b32_e32 v3, v2
	v_readfirstlane_b32 s14, v12
	v_readfirstlane_b32 s15, v13
	s_mov_b32 s17, s16
	v_add_co_u32_e32 v10, vcc, v12, v52
	s_mov_b32 s18, s16
	s_mov_b32 s19, s16
	s_nop 0
	global_store_dwordx4 v52, v[0:3], s[14:15]
	v_addc_co_u32_e32 v11, vcc, 0, v13, vcc
	v_pk_mov_b32 v[0:1], s[16:17], s[16:17] op_sel:[0,1]
	v_pk_mov_b32 v[2:3], s[18:19], s[18:19] op_sel:[0,1]
	global_store_dwordx4 v52, v[0:3], s[14:15] offset:16
	global_store_dwordx4 v52, v[0:3], s[14:15] offset:32
	;; [unrolled: 1-line block ×3, first 2 shown]
	s_and_saveexec_b64 s[14:15], s[4:5]
	s_cbranch_execz .LBB10_385
; %bb.378:
	v_mov_b32_e32 v12, 0
	global_load_dwordx2 v[16:17], v12, s[10:11] offset:32 glc
	global_load_dwordx2 v[0:1], v12, s[10:11] offset:40
	v_mov_b32_e32 v14, s12
	v_mov_b32_e32 v15, s13
	s_waitcnt vmcnt(0)
	v_readfirstlane_b32 s16, v0
	v_readfirstlane_b32 s17, v1
	s_and_b64 s[16:17], s[16:17], s[12:13]
	s_mul_i32 s17, s17, 24
	s_mul_hi_u32 s18, s16, 24
	s_mul_i32 s16, s16, 24
	s_add_i32 s17, s18, s17
	v_mov_b32_e32 v0, s17
	v_add_co_u32_e32 v8, vcc, s16, v8
	v_addc_co_u32_e32 v9, vcc, v9, v0, vcc
	global_store_dwordx2 v[8:9], v[16:17], off
	buffer_wbl2
	s_waitcnt vmcnt(0)
	global_atomic_cmpswap_x2 v[2:3], v12, v[14:17], s[10:11] offset:32 glc
	s_waitcnt vmcnt(0)
	v_cmp_ne_u64_e32 vcc, v[2:3], v[16:17]
	s_and_saveexec_b64 s[16:17], vcc
	s_cbranch_execz .LBB10_381
; %bb.379:
	s_mov_b64 s[18:19], 0
.LBB10_380:                             ; =>This Inner Loop Header: Depth=1
	s_sleep 1
	global_store_dwordx2 v[8:9], v[2:3], off
	v_mov_b32_e32 v0, s12
	v_mov_b32_e32 v1, s13
	buffer_wbl2
	s_waitcnt vmcnt(0)
	global_atomic_cmpswap_x2 v[0:1], v12, v[0:3], s[10:11] offset:32 glc
	s_waitcnt vmcnt(0)
	v_cmp_eq_u64_e32 vcc, v[0:1], v[2:3]
	s_or_b64 s[18:19], vcc, s[18:19]
	v_pk_mov_b32 v[2:3], v[0:1], v[0:1] op_sel:[0,1]
	s_andn2_b64 exec, exec, s[18:19]
	s_cbranch_execnz .LBB10_380
.LBB10_381:
	s_or_b64 exec, exec, s[16:17]
	v_mov_b32_e32 v3, 0
	global_load_dwordx2 v[0:1], v3, s[10:11] offset:16
	s_mov_b64 s[16:17], exec
	v_mbcnt_lo_u32_b32 v2, s16, 0
	v_mbcnt_hi_u32_b32 v2, s17, v2
	v_cmp_eq_u32_e32 vcc, 0, v2
	s_and_saveexec_b64 s[18:19], vcc
	s_cbranch_execz .LBB10_383
; %bb.382:
	s_bcnt1_i32_b64 s16, s[16:17]
	v_mov_b32_e32 v2, s16
	buffer_wbl2
	s_waitcnt vmcnt(0)
	global_atomic_add_x2 v[0:1], v[2:3], off offset:8
.LBB10_383:
	s_or_b64 exec, exec, s[18:19]
	s_waitcnt vmcnt(0)
	global_load_dwordx2 v[2:3], v[0:1], off offset:16
	s_waitcnt vmcnt(0)
	v_cmp_eq_u64_e32 vcc, 0, v[2:3]
	s_cbranch_vccnz .LBB10_385
; %bb.384:
	global_load_dword v0, v[0:1], off offset:24
	v_mov_b32_e32 v1, 0
	buffer_wbl2
	s_waitcnt vmcnt(0)
	global_store_dwordx2 v[2:3], v[0:1], off
	v_and_b32_e32 v0, 0xffffff, v0
	v_readfirstlane_b32 m0, v0
	s_sendmsg sendmsg(MSG_INTERRUPT)
.LBB10_385:
	s_or_b64 exec, exec, s[14:15]
	s_branch .LBB10_389
.LBB10_386:                             ;   in Loop: Header=BB10_389 Depth=1
	s_or_b64 exec, exec, s[14:15]
	v_readfirstlane_b32 s14, v0
	s_cmp_eq_u32 s14, 0
	s_cbranch_scc1 .LBB10_388
; %bb.387:                              ;   in Loop: Header=BB10_389 Depth=1
	s_sleep 1
	s_cbranch_execnz .LBB10_389
	s_branch .LBB10_391
.LBB10_388:
	s_branch .LBB10_391
.LBB10_389:                             ; =>This Inner Loop Header: Depth=1
	v_mov_b32_e32 v0, 1
	s_and_saveexec_b64 s[14:15], s[4:5]
	s_cbranch_execz .LBB10_386
; %bb.390:                              ;   in Loop: Header=BB10_389 Depth=1
	global_load_dword v0, v[4:5], off offset:20 glc
	s_waitcnt vmcnt(0)
	buffer_invl2
	buffer_wbinvl1_vol
	v_and_b32_e32 v0, 1, v0
	s_branch .LBB10_386
.LBB10_391:
	global_load_dwordx2 v[0:1], v[10:11], off
	s_and_saveexec_b64 s[14:15], s[4:5]
	s_cbranch_execz .LBB10_394
; %bb.392:
	v_mov_b32_e32 v10, 0
	global_load_dwordx2 v[8:9], v10, s[10:11] offset:40
	global_load_dwordx2 v[12:13], v10, s[10:11] offset:24 glc
	global_load_dwordx2 v[14:15], v10, s[10:11]
	v_mov_b32_e32 v3, s13
	s_mov_b64 s[4:5], 0
	s_waitcnt vmcnt(2)
	v_add_co_u32_e32 v5, vcc, 1, v8
	v_addc_co_u32_e32 v11, vcc, 0, v9, vcc
	v_add_co_u32_e32 v2, vcc, s12, v5
	v_addc_co_u32_e32 v3, vcc, v11, v3, vcc
	v_cmp_eq_u64_e32 vcc, 0, v[2:3]
	v_cndmask_b32_e32 v3, v3, v11, vcc
	v_cndmask_b32_e32 v2, v2, v5, vcc
	v_and_b32_e32 v5, v3, v9
	v_and_b32_e32 v8, v2, v8
	v_mul_lo_u32 v5, v5, 24
	v_mul_hi_u32 v9, v8, 24
	v_mul_lo_u32 v8, v8, 24
	v_add_u32_e32 v5, v9, v5
	s_waitcnt vmcnt(0)
	v_add_co_u32_e32 v8, vcc, v14, v8
	v_addc_co_u32_e32 v9, vcc, v15, v5, vcc
	v_mov_b32_e32 v4, v12
	global_store_dwordx2 v[8:9], v[12:13], off
	v_mov_b32_e32 v5, v13
	buffer_wbl2
	s_waitcnt vmcnt(0)
	global_atomic_cmpswap_x2 v[4:5], v10, v[2:5], s[10:11] offset:24 glc
	s_waitcnt vmcnt(0)
	v_cmp_ne_u64_e32 vcc, v[4:5], v[12:13]
	s_and_b64 exec, exec, vcc
	s_cbranch_execz .LBB10_394
.LBB10_393:                             ; =>This Inner Loop Header: Depth=1
	s_sleep 1
	global_store_dwordx2 v[8:9], v[4:5], off
	buffer_wbl2
	s_waitcnt vmcnt(0)
	global_atomic_cmpswap_x2 v[12:13], v10, v[2:5], s[10:11] offset:24 glc
	s_waitcnt vmcnt(0)
	v_cmp_eq_u64_e32 vcc, v[12:13], v[4:5]
	s_or_b64 s[4:5], vcc, s[4:5]
	v_pk_mov_b32 v[4:5], v[12:13], v[12:13] op_sel:[0,1]
	s_andn2_b64 exec, exec, s[4:5]
	s_cbranch_execnz .LBB10_393
.LBB10_394:
	s_or_b64 exec, exec, s[14:15]
.LBB10_395:
	s_or_b64 exec, exec, s[6:7]
	s_mov_b64 s[4:5], 0
	s_waitcnt vmcnt(0)
	v_pk_mov_b32 v[2:3], v[6:7], v[6:7] op_sel:[0,1]
.LBB10_396:                             ; =>This Inner Loop Header: Depth=1
	flat_load_ubyte v8, v[2:3]
	v_add_co_u32_e32 v4, vcc, 1, v2
	v_addc_co_u32_e32 v5, vcc, 0, v3, vcc
	v_pk_mov_b32 v[2:3], v[4:5], v[4:5] op_sel:[0,1]
	s_waitcnt vmcnt(0) lgkmcnt(0)
	v_cmp_eq_u16_e32 vcc, 0, v8
	s_or_b64 s[4:5], vcc, s[4:5]
	s_andn2_b64 exec, exec, s[4:5]
	s_cbranch_execnz .LBB10_396
; %bb.397:
	s_or_b64 exec, exec, s[4:5]
	v_sub_u32_e32 v4, v4, v6
	v_ashrrev_i32_e32 v5, 31, v4
	v_mov_b32_e32 v2, v6
	v_mov_b32_e32 v3, v7
	;; [unrolled: 1-line block ×3, first 2 shown]
	s_getpc_b64 s[4:5]
	s_add_u32 s4, s4, __ockl_fprintf_append_string_n@rel32@lo+4
	s_addc_u32 s5, s5, __ockl_fprintf_append_string_n@rel32@hi+12
	s_swappc_b64 s[30:31], s[4:5]
	s_trap 2
.Lfunc_end10:
	.size	__assert_fail, .Lfunc_end10-__assert_fail
                                        ; -- End function
	.section	.AMDGPU.csdata,"",@progbits
; Function info:
; codeLenInByte = 16104
; NumSgprs: 38
; NumVgprs: 54
; NumAgprs: 0
; TotalNumVgprs: 54
; ScratchSize: 64
; MemoryBound: 0
	.section	.text._ZN9rocsolver6v33100L15syevx_sort_eigsIffPfEEviPiPT0_lT1_iilS3_lS3_S3_,"axG",@progbits,_ZN9rocsolver6v33100L15syevx_sort_eigsIffPfEEviPiPT0_lT1_iilS3_lS3_S3_,comdat
	.globl	_ZN9rocsolver6v33100L15syevx_sort_eigsIffPfEEviPiPT0_lT1_iilS3_lS3_S3_ ; -- Begin function _ZN9rocsolver6v33100L15syevx_sort_eigsIffPfEEviPiPT0_lT1_iilS3_lS3_S3_
	.p2align	8
	.type	_ZN9rocsolver6v33100L15syevx_sort_eigsIffPfEEviPiPT0_lT1_iilS3_lS3_S3_,@function
_ZN9rocsolver6v33100L15syevx_sort_eigsIffPfEEviPiPT0_lT1_iilS3_lS3_S3_: ; @_ZN9rocsolver6v33100L15syevx_sort_eigsIffPfEEviPiPT0_lT1_iilS3_lS3_S3_
; %bb.0:
	s_add_u32 flat_scratch_lo, s6, s10
	s_addc_u32 flat_scratch_hi, s7, 0
	s_mov_b64 s[26:27], s[4:5]
	s_load_dwordx8 s[36:43], s[4:5], 0x8
	s_load_dwordx8 s[44:51], s[4:5], 0x30
	s_nop 0
	s_load_dwordx2 s[4:5], s[4:5], 0x50
	s_add_u32 s0, s0, s10
	s_mov_b32 s34, s9
	s_mov_b32 s35, 0
	s_addc_u32 s1, s1, 0
	s_lshl_b64 s[6:7], s[34:35], 2
	s_waitcnt lgkmcnt(0)
	s_add_u32 s8, s36, s6
	s_addc_u32 s9, s37, s7
	s_load_dword s35, s[8:9], 0x0
	s_add_u32 s6, s50, s6
	s_addc_u32 s7, s51, s7
	s_mov_b64 s[36:37], 0
	s_cmp_eq_u64 s[46:47], 0
	s_mov_b64 s[28:29], 0
	s_mov_b32 s32, 0
	s_cbranch_scc1 .LBB11_2
; %bb.1:
	s_mul_i32 s8, s34, s49
	s_mul_hi_u32 s9, s34, s48
	s_add_i32 s9, s9, s8
	s_mul_i32 s8, s34, s48
	s_lshl_b64 s[8:9], s[8:9], 2
	s_add_u32 s28, s46, s8
	s_addc_u32 s29, s47, s9
.LBB11_2:
	s_load_dword s52, s[26:27], 0x0
	s_mov_b64 s[8:9], -1
	s_waitcnt lgkmcnt(0)
	s_cmp_le_i32 s35, s52
	s_cbranch_scc1 .LBB11_6
; %bb.3:
	s_and_b64 vcc, exec, s[8:9]
	s_cbranch_vccnz .LBB11_136
.LBB11_4:
	s_and_saveexec_b64 s[4:5], s[36:37]
	s_cbranch_execnz .LBB11_137
.LBB11_5:
	s_endpgm
.LBB11_6:
	s_cmp_lg_u64 s[4:5], 0
	s_mov_b64 s[46:47], 0
	s_cbranch_scc0 .LBB11_21
; %bb.7:
	s_load_dwordx2 s[8:9], s[26:27], 0x64
	s_load_dword s53, s[6:7], 0x0
	s_mul_i32 s10, s34, s52
	s_mov_b32 s11, 0
	s_lshl_b64 s[10:11], s[10:11], 2
	s_waitcnt lgkmcnt(0)
	s_and_b32 s9, s9, 0xffff
	s_lshr_b32 s7, s8, 16
	s_and_b32 s14, s8, 0xffff
	s_and_b32 s6, s9, 0xffff
	s_add_u32 s50, s4, s10
	s_addc_u32 s54, s5, s11
	s_cmp_gt_i32 s35, 0
	s_cselect_b64 s[8:9], -1, 0
	s_cmp_lg_u64 s[38:39], 0
	s_cselect_b64 s[12:13], -1, 0
	s_and_b64 s[8:9], s[12:13], s[8:9]
	v_bfe_u32 v1, v0, 10, 10
	v_bfe_u32 v4, v0, 20, 10
	s_mul_i32 s7, s7, s14
	v_and_b32_e32 v41, 0x3ff, v0
	s_and_b64 vcc, exec, s[8:9]
	v_mul_u32_u24_e32 v42, s14, v1
	v_mul_lo_u32 v43, s7, v4
	s_mul_i32 s51, s7, s6
	s_barrier
	s_cbranch_vccz .LBB11_22
; %bb.8:
	v_add3_u32 v0, v42, v41, v43
	s_mul_i32 s55, s7, s6
	v_cmp_gt_u32_e32 vcc, s35, v0
	s_barrier
	s_and_saveexec_b64 s[6:7], vcc
	s_cbranch_execz .LBB11_11
; %bb.9:
	s_mov_b64 s[8:9], 0
	v_mov_b32_e32 v3, 0
	v_mov_b32_e32 v5, s54
	;; [unrolled: 1-line block ×3, first 2 shown]
.LBB11_10:                              ; =>This Inner Loop Header: Depth=1
	v_lshlrev_b64 v[6:7], 2, v[2:3]
	v_add_co_u32_e32 v6, vcc, s50, v6
	v_addc_co_u32_e32 v7, vcc, v5, v7, vcc
	global_store_dword v[6:7], v2, off
	v_add_u32_e32 v2, s55, v2
	v_cmp_le_u32_e32 vcc, s35, v2
	s_or_b64 s[8:9], vcc, s[8:9]
	s_andn2_b64 exec, exec, s[8:9]
	s_cbranch_execnz .LBB11_10
.LBB11_11:
	s_or_b64 exec, exec, s[6:7]
	s_mul_i32 s6, s34, s41
	s_mul_hi_u32 s7, s34, s40
	s_add_i32 s7, s7, s6
	s_mul_i32 s6, s34, s40
	s_lshl_b64 s[12:13], s[6:7], 2
	v_or3_b32 v1, v1, v4, v41
	s_add_u32 s6, s38, s12
	v_cmp_eq_u32_e32 vcc, 0, v1
	s_addc_u32 s7, s39, s13
	s_barrier
	s_and_saveexec_b64 s[8:9], vcc
	s_cbranch_execz .LBB11_87
; %bb.12:
	s_cmpk_lt_i32 s35, 0x2be
	s_cbranch_scc1 .LBB11_24
; %bb.13:
	s_add_u32 s14, s4, s10
	s_addc_u32 s15, s5, s11
	s_add_u32 s14, s14, 0xaf4
	s_addc_u32 s15, s15, 0
	s_mov_b64 s[16:17], 0x2bd
	s_mov_b32 s19, 0
	v_mov_b32_e32 v1, 0
	s_mov_b64 s[20:21], s[6:7]
	s_branch .LBB11_15
.LBB11_14:                              ;   in Loop: Header=BB11_15 Depth=1
	s_lshl_b64 s[22:23], s[40:41], 2
	s_add_u32 s24, s6, s22
	s_addc_u32 s25, s7, s23
	s_add_u32 s22, s50, s22
	s_addc_u32 s23, s54, s23
	;; [unrolled: 2-line block ×5, first 2 shown]
	s_cmp_ge_i32 s16, s35
	s_waitcnt vmcnt(1)
	global_store_dword v1, v3, s[24:25]
	s_waitcnt vmcnt(1)
	global_store_dword v1, v2, s[22:23]
	s_cbranch_scc1 .LBB11_24
.LBB11_15:                              ; =>This Loop Header: Depth=1
                                        ;     Child Loop BB11_17 Depth 2
	s_mov_b32 s18, s16
	s_lshl_b64 s[22:23], s[18:19], 2
	s_add_u32 s24, s6, s22
	s_addc_u32 s25, s7, s23
	s_add_u32 s22, s50, s22
	s_addc_u32 s23, s54, s23
	global_load_dword v3, v1, s[24:25]
	global_load_dword v2, v1, s[22:23]
	s_cmpk_lt_u32 s16, 0x2bd
	s_mov_b64 s[40:41], s[18:19]
	s_mov_b64 s[22:23], s[20:21]
	;; [unrolled: 1-line block ×4, first 2 shown]
	s_cbranch_scc0 .LBB11_17
	s_branch .LBB11_14
.LBB11_16:                              ;   in Loop: Header=BB11_17 Depth=2
	global_load_dword v5, v1, s[24:25] offset:-2804
	s_add_u32 s40, s24, 0xfffff50c
	s_addc_u32 s41, s25, -1
	s_add_u32 s46, s30, 0xfffffd43
	s_addc_u32 s47, s31, -1
	global_store_dword v1, v4, s[22:23] offset:2804
	s_add_u32 s22, s22, 0xfffff50c
	s_addc_u32 s23, s23, -1
	s_cmpk_lt_i32 s30, 0x57a
	s_mov_b64 s[36:37], 0
	s_mov_b64 s[30:31], s[46:47]
	s_cselect_b64 s[48:49], -1, 0
	s_waitcnt vmcnt(1)
	global_store_dword v1, v5, s[24:25]
	s_mov_b64 s[24:25], s[40:41]
                                        ; implicit-def: $sgpr40_sgpr41
	s_andn2_b64 vcc, exec, s[48:49]
	s_cbranch_vccz .LBB11_19
.LBB11_17:                              ;   Parent Loop BB11_15 Depth=1
                                        ; =>  This Inner Loop Header: Depth=2
	global_load_dword v4, v1, s[22:23]
	s_mov_b64 s[36:37], -1
	s_waitcnt vmcnt(0)
	v_cmp_ngt_f32_e32 vcc, v4, v3
	s_cbranch_vccz .LBB11_16
; %bb.18:                               ;   in Loop: Header=BB11_15 Depth=1
                                        ; implicit-def: $sgpr24_sgpr25
                                        ; implicit-def: $sgpr22_sgpr23
	s_mov_b64 s[40:41], s[30:31]
                                        ; implicit-def: $sgpr46_sgpr47
.LBB11_19:                              ;   in Loop: Header=BB11_15 Depth=1
	s_andn2_b64 vcc, exec, s[36:37]
	s_cbranch_vccz .LBB11_14
; %bb.20:                               ;   in Loop: Header=BB11_15 Depth=1
	s_bfe_i64 s[40:41], s[46:47], 0x200000
	s_branch .LBB11_14
.LBB11_21:
	s_cbranch_execnz .LBB11_134
	s_branch .LBB11_135
.LBB11_22:
                                        ; implicit-def: $vgpr0
                                        ; implicit-def: $sgpr55
	s_cbranch_execnz .LBB11_102
.LBB11_23:
	s_mov_b32 s51, s55
	s_and_saveexec_b64 s[38:39], s[46:47]
	s_cbranch_execnz .LBB11_103
	s_branch .LBB11_133
.LBB11_24:
	s_cmpk_lt_i32 s35, 0x12e
	s_cbranch_scc1 .LBB11_33
; %bb.25:
	s_add_u32 s14, s4, s10
	s_addc_u32 s15, s5, s11
	s_add_u32 s14, s14, 0x4b4
	s_addc_u32 s15, s15, 0
	s_mov_b64 s[16:17], 0x12d
	s_mov_b32 s19, 0
	v_mov_b32_e32 v1, 0
	s_mov_b64 s[20:21], s[6:7]
	s_branch .LBB11_27
.LBB11_26:                              ;   in Loop: Header=BB11_27 Depth=1
	s_lshl_b64 s[22:23], s[40:41], 2
	s_add_u32 s24, s6, s22
	s_addc_u32 s25, s7, s23
	s_add_u32 s22, s50, s22
	s_addc_u32 s23, s54, s23
	;; [unrolled: 2-line block ×5, first 2 shown]
	s_cmp_lt_i32 s16, s35
	s_waitcnt vmcnt(1)
	global_store_dword v1, v3, s[24:25]
	s_waitcnt vmcnt(1)
	global_store_dword v1, v2, s[22:23]
	s_cbranch_scc0 .LBB11_33
.LBB11_27:                              ; =>This Loop Header: Depth=1
                                        ;     Child Loop BB11_29 Depth 2
	s_mov_b32 s18, s16
	s_lshl_b64 s[22:23], s[18:19], 2
	s_add_u32 s24, s6, s22
	s_addc_u32 s25, s7, s23
	s_add_u32 s22, s50, s22
	s_addc_u32 s23, s54, s23
	global_load_dword v3, v1, s[24:25]
	global_load_dword v2, v1, s[22:23]
	s_cmpk_lt_u32 s16, 0x12d
	s_mov_b64 s[40:41], s[18:19]
	s_mov_b64 s[22:23], s[20:21]
	;; [unrolled: 1-line block ×4, first 2 shown]
	s_cbranch_scc0 .LBB11_29
	s_branch .LBB11_26
.LBB11_28:                              ;   in Loop: Header=BB11_29 Depth=2
	global_load_dword v5, v1, s[24:25] offset:-1204
	s_add_u32 s40, s24, 0xfffffb4c
	s_addc_u32 s41, s25, -1
	s_add_u32 s46, s30, 0xfffffed3
	s_addc_u32 s47, s31, -1
	global_store_dword v1, v4, s[22:23] offset:1204
	s_add_u32 s22, s22, 0xfffffb4c
	s_addc_u32 s23, s23, -1
	s_cmpk_lt_i32 s30, 0x25a
	s_mov_b64 s[36:37], 0
	s_mov_b64 s[30:31], s[46:47]
	s_cselect_b64 s[48:49], -1, 0
	s_waitcnt vmcnt(1)
	global_store_dword v1, v5, s[24:25]
	s_mov_b64 s[24:25], s[40:41]
                                        ; implicit-def: $sgpr40_sgpr41
	s_andn2_b64 vcc, exec, s[48:49]
	s_cbranch_vccz .LBB11_31
.LBB11_29:                              ;   Parent Loop BB11_27 Depth=1
                                        ; =>  This Inner Loop Header: Depth=2
	global_load_dword v4, v1, s[22:23]
	s_mov_b64 s[36:37], -1
	s_waitcnt vmcnt(0)
	v_cmp_ngt_f32_e32 vcc, v4, v3
	s_cbranch_vccz .LBB11_28
; %bb.30:                               ;   in Loop: Header=BB11_27 Depth=1
                                        ; implicit-def: $sgpr24_sgpr25
                                        ; implicit-def: $sgpr22_sgpr23
	s_mov_b64 s[40:41], s[30:31]
                                        ; implicit-def: $sgpr46_sgpr47
.LBB11_31:                              ;   in Loop: Header=BB11_27 Depth=1
	s_andn2_b64 vcc, exec, s[36:37]
	s_cbranch_vccz .LBB11_26
; %bb.32:                               ;   in Loop: Header=BB11_27 Depth=1
	s_bfe_i64 s[40:41], s[46:47], 0x200000
	s_branch .LBB11_26
.LBB11_33:
	s_cmpk_lt_i32 s35, 0x85
	s_cbranch_scc1 .LBB11_42
; %bb.34:
	s_add_u32 s14, s4, s10
	s_addc_u32 s15, s5, s11
	s_add_u32 s14, s14, 0x210
	s_addc_u32 s15, s15, 0
	s_mov_b64 s[16:17], 0x84
	s_mov_b32 s19, 0
	v_mov_b32_e32 v1, 0
	s_mov_b64 s[20:21], s[6:7]
	s_branch .LBB11_36
.LBB11_35:                              ;   in Loop: Header=BB11_36 Depth=1
	s_lshl_b64 s[22:23], s[40:41], 2
	s_add_u32 s24, s6, s22
	s_addc_u32 s25, s7, s23
	s_add_u32 s22, s50, s22
	s_addc_u32 s23, s54, s23
	;; [unrolled: 2-line block ×5, first 2 shown]
	s_cmp_lt_i32 s16, s35
	s_waitcnt vmcnt(1)
	global_store_dword v1, v3, s[24:25]
	s_waitcnt vmcnt(1)
	global_store_dword v1, v2, s[22:23]
	s_cbranch_scc0 .LBB11_42
.LBB11_36:                              ; =>This Loop Header: Depth=1
                                        ;     Child Loop BB11_38 Depth 2
	s_mov_b32 s18, s16
	s_lshl_b64 s[22:23], s[18:19], 2
	s_add_u32 s24, s6, s22
	s_addc_u32 s25, s7, s23
	s_add_u32 s22, s50, s22
	s_addc_u32 s23, s54, s23
	global_load_dword v3, v1, s[24:25]
	global_load_dword v2, v1, s[22:23]
	s_cmpk_lt_u32 s16, 0x84
	s_mov_b64 s[40:41], s[18:19]
	s_mov_b64 s[22:23], s[20:21]
	;; [unrolled: 1-line block ×4, first 2 shown]
	s_cbranch_scc0 .LBB11_38
	s_branch .LBB11_35
.LBB11_37:                              ;   in Loop: Header=BB11_38 Depth=2
	global_load_dword v5, v1, s[24:25] offset:-528
	s_add_u32 s40, s24, 0xfffffdf0
	s_addc_u32 s41, s25, -1
	s_add_u32 s46, s30, 0xffffff7c
	s_addc_u32 s47, s31, -1
	global_store_dword v1, v4, s[22:23] offset:528
	s_add_u32 s22, s22, 0xfffffdf0
	s_addc_u32 s23, s23, -1
	s_cmpk_lt_i32 s30, 0x108
	s_mov_b64 s[36:37], 0
	s_mov_b64 s[30:31], s[46:47]
	s_cselect_b64 s[48:49], -1, 0
	s_waitcnt vmcnt(1)
	global_store_dword v1, v5, s[24:25]
	s_mov_b64 s[24:25], s[40:41]
                                        ; implicit-def: $sgpr40_sgpr41
	s_andn2_b64 vcc, exec, s[48:49]
	s_cbranch_vccz .LBB11_40
.LBB11_38:                              ;   Parent Loop BB11_36 Depth=1
                                        ; =>  This Inner Loop Header: Depth=2
	global_load_dword v4, v1, s[22:23]
	s_mov_b64 s[36:37], -1
	s_waitcnt vmcnt(0)
	v_cmp_ngt_f32_e32 vcc, v4, v3
	s_cbranch_vccz .LBB11_37
; %bb.39:                               ;   in Loop: Header=BB11_36 Depth=1
                                        ; implicit-def: $sgpr24_sgpr25
                                        ; implicit-def: $sgpr22_sgpr23
	s_mov_b64 s[40:41], s[30:31]
                                        ; implicit-def: $sgpr46_sgpr47
.LBB11_40:                              ;   in Loop: Header=BB11_36 Depth=1
	s_andn2_b64 vcc, exec, s[36:37]
	s_cbranch_vccz .LBB11_35
; %bb.41:                               ;   in Loop: Header=BB11_36 Depth=1
	s_bfe_i64 s[40:41], s[46:47], 0x200000
	s_branch .LBB11_35
.LBB11_42:
	s_cmp_lt_i32 s35, 58
	s_cbranch_scc1 .LBB11_51
; %bb.43:
	s_add_u32 s14, s4, s10
	s_addc_u32 s15, s5, s11
	s_add_u32 s14, s14, 0xe4
	s_addc_u32 s15, s15, 0
	s_mov_b64 s[16:17], 57
	s_mov_b32 s19, 0
	v_mov_b32_e32 v1, 0
	s_mov_b64 s[20:21], s[6:7]
	s_branch .LBB11_45
.LBB11_44:                              ;   in Loop: Header=BB11_45 Depth=1
	s_lshl_b64 s[22:23], s[40:41], 2
	s_add_u32 s24, s6, s22
	s_addc_u32 s25, s7, s23
	s_add_u32 s22, s50, s22
	s_addc_u32 s23, s54, s23
	;; [unrolled: 2-line block ×5, first 2 shown]
	s_cmp_lt_i32 s16, s35
	s_waitcnt vmcnt(1)
	global_store_dword v1, v3, s[24:25]
	s_waitcnt vmcnt(1)
	global_store_dword v1, v2, s[22:23]
	s_cbranch_scc0 .LBB11_51
.LBB11_45:                              ; =>This Loop Header: Depth=1
                                        ;     Child Loop BB11_47 Depth 2
	s_mov_b32 s18, s16
	s_lshl_b64 s[22:23], s[18:19], 2
	s_add_u32 s24, s6, s22
	s_addc_u32 s25, s7, s23
	s_add_u32 s22, s50, s22
	s_addc_u32 s23, s54, s23
	global_load_dword v3, v1, s[24:25]
	global_load_dword v2, v1, s[22:23]
	s_cmp_lt_u32 s16, 57
	s_mov_b64 s[40:41], s[18:19]
	s_mov_b64 s[22:23], s[20:21]
	;; [unrolled: 1-line block ×4, first 2 shown]
	s_cbranch_scc0 .LBB11_47
	s_branch .LBB11_44
.LBB11_46:                              ;   in Loop: Header=BB11_47 Depth=2
	global_load_dword v5, v1, s[24:25] offset:-228
	s_add_u32 s40, s24, 0xffffff1c
	s_addc_u32 s41, s25, -1
	s_add_u32 s46, s30, 0xffffffc7
	s_addc_u32 s47, s31, -1
	global_store_dword v1, v4, s[22:23] offset:228
	s_add_u32 s22, s22, 0xffffff1c
	s_addc_u32 s23, s23, -1
	s_cmpk_lt_i32 s30, 0x72
	s_mov_b64 s[36:37], 0
	s_mov_b64 s[30:31], s[46:47]
	s_cselect_b64 s[48:49], -1, 0
	s_waitcnt vmcnt(1)
	global_store_dword v1, v5, s[24:25]
	s_mov_b64 s[24:25], s[40:41]
                                        ; implicit-def: $sgpr40_sgpr41
	s_andn2_b64 vcc, exec, s[48:49]
	s_cbranch_vccz .LBB11_49
.LBB11_47:                              ;   Parent Loop BB11_45 Depth=1
                                        ; =>  This Inner Loop Header: Depth=2
	global_load_dword v4, v1, s[22:23]
	s_mov_b64 s[36:37], -1
	s_waitcnt vmcnt(0)
	v_cmp_ngt_f32_e32 vcc, v4, v3
	s_cbranch_vccz .LBB11_46
; %bb.48:                               ;   in Loop: Header=BB11_45 Depth=1
                                        ; implicit-def: $sgpr24_sgpr25
                                        ; implicit-def: $sgpr22_sgpr23
	s_mov_b64 s[40:41], s[30:31]
                                        ; implicit-def: $sgpr46_sgpr47
.LBB11_49:                              ;   in Loop: Header=BB11_45 Depth=1
	s_andn2_b64 vcc, exec, s[36:37]
	s_cbranch_vccz .LBB11_44
; %bb.50:                               ;   in Loop: Header=BB11_45 Depth=1
	s_bfe_i64 s[40:41], s[46:47], 0x200000
	s_branch .LBB11_44
.LBB11_51:
	s_cmp_lt_i32 s35, 24
	s_cbranch_scc1 .LBB11_60
; %bb.52:
	s_add_u32 s14, s4, s10
	s_addc_u32 s15, s5, s11
	s_add_u32 s14, s14, 0x5c
	s_addc_u32 s15, s15, 0
	s_mov_b64 s[16:17], 23
	s_mov_b32 s19, 0
	v_mov_b32_e32 v1, 0
	s_mov_b64 s[20:21], s[6:7]
	s_branch .LBB11_54
.LBB11_53:                              ;   in Loop: Header=BB11_54 Depth=1
	s_lshl_b64 s[22:23], s[40:41], 2
	s_add_u32 s24, s6, s22
	s_addc_u32 s25, s7, s23
	s_add_u32 s22, s50, s22
	s_addc_u32 s23, s54, s23
	;; [unrolled: 2-line block ×5, first 2 shown]
	s_cmp_lt_i32 s16, s35
	s_waitcnt vmcnt(1)
	global_store_dword v1, v3, s[24:25]
	s_waitcnt vmcnt(1)
	global_store_dword v1, v2, s[22:23]
	s_cbranch_scc0 .LBB11_60
.LBB11_54:                              ; =>This Loop Header: Depth=1
                                        ;     Child Loop BB11_56 Depth 2
	s_mov_b32 s18, s16
	s_lshl_b64 s[22:23], s[18:19], 2
	s_add_u32 s24, s6, s22
	s_addc_u32 s25, s7, s23
	s_add_u32 s22, s50, s22
	s_addc_u32 s23, s54, s23
	global_load_dword v3, v1, s[24:25]
	global_load_dword v2, v1, s[22:23]
	s_cmp_lt_u32 s16, 23
	s_mov_b64 s[40:41], s[18:19]
	s_mov_b64 s[22:23], s[20:21]
	;; [unrolled: 1-line block ×4, first 2 shown]
	s_cbranch_scc0 .LBB11_56
	s_branch .LBB11_53
.LBB11_55:                              ;   in Loop: Header=BB11_56 Depth=2
	global_load_dword v5, v1, s[24:25] offset:-92
	s_add_u32 s40, s24, 0xffffffa4
	s_addc_u32 s41, s25, -1
	s_add_u32 s46, s30, 0xffffffe9
	s_addc_u32 s47, s31, -1
	global_store_dword v1, v4, s[22:23] offset:92
	s_add_u32 s22, s22, 0xffffffa4
	s_addc_u32 s23, s23, -1
	s_cmp_lt_i32 s30, 46
	s_mov_b64 s[36:37], 0
	s_mov_b64 s[30:31], s[46:47]
	s_cselect_b64 s[48:49], -1, 0
	s_waitcnt vmcnt(1)
	global_store_dword v1, v5, s[24:25]
	s_mov_b64 s[24:25], s[40:41]
                                        ; implicit-def: $sgpr40_sgpr41
	s_andn2_b64 vcc, exec, s[48:49]
	s_cbranch_vccz .LBB11_58
.LBB11_56:                              ;   Parent Loop BB11_54 Depth=1
                                        ; =>  This Inner Loop Header: Depth=2
	global_load_dword v4, v1, s[22:23]
	s_mov_b64 s[36:37], -1
	s_waitcnt vmcnt(0)
	v_cmp_ngt_f32_e32 vcc, v4, v3
	s_cbranch_vccz .LBB11_55
; %bb.57:                               ;   in Loop: Header=BB11_54 Depth=1
                                        ; implicit-def: $sgpr24_sgpr25
                                        ; implicit-def: $sgpr22_sgpr23
	s_mov_b64 s[40:41], s[30:31]
                                        ; implicit-def: $sgpr46_sgpr47
.LBB11_58:                              ;   in Loop: Header=BB11_54 Depth=1
	s_andn2_b64 vcc, exec, s[36:37]
	s_cbranch_vccz .LBB11_53
; %bb.59:                               ;   in Loop: Header=BB11_54 Depth=1
	s_bfe_i64 s[40:41], s[46:47], 0x200000
	s_branch .LBB11_53
.LBB11_60:
	s_cmp_lt_i32 s35, 11
	s_cbranch_scc1 .LBB11_69
; %bb.61:
	s_add_u32 s14, s4, s10
	s_addc_u32 s15, s5, s11
	s_add_u32 s14, s14, 40
	s_addc_u32 s15, s15, 0
	s_mov_b64 s[16:17], 10
	s_mov_b32 s19, 0
	v_mov_b32_e32 v1, 0
	s_mov_b64 s[20:21], s[6:7]
	s_branch .LBB11_63
.LBB11_62:                              ;   in Loop: Header=BB11_63 Depth=1
	s_lshl_b64 s[22:23], s[40:41], 2
	s_add_u32 s24, s6, s22
	s_addc_u32 s25, s7, s23
	s_add_u32 s22, s50, s22
	s_addc_u32 s23, s54, s23
	;; [unrolled: 2-line block ×5, first 2 shown]
	s_cmp_lt_i32 s16, s35
	s_waitcnt vmcnt(1)
	global_store_dword v1, v3, s[24:25]
	s_waitcnt vmcnt(1)
	global_store_dword v1, v2, s[22:23]
	s_cbranch_scc0 .LBB11_69
.LBB11_63:                              ; =>This Loop Header: Depth=1
                                        ;     Child Loop BB11_65 Depth 2
	s_mov_b32 s18, s16
	s_lshl_b64 s[22:23], s[18:19], 2
	s_add_u32 s24, s6, s22
	s_addc_u32 s25, s7, s23
	s_add_u32 s22, s50, s22
	s_addc_u32 s23, s54, s23
	global_load_dword v3, v1, s[24:25]
	global_load_dword v2, v1, s[22:23]
	s_cmp_lt_u32 s16, 10
	s_mov_b64 s[40:41], s[18:19]
	s_mov_b64 s[22:23], s[20:21]
	;; [unrolled: 1-line block ×4, first 2 shown]
	s_cbranch_scc0 .LBB11_65
	s_branch .LBB11_62
.LBB11_64:                              ;   in Loop: Header=BB11_65 Depth=2
	global_load_dword v5, v1, s[24:25] offset:-40
	s_add_u32 s40, s24, 0xffffffd8
	s_addc_u32 s41, s25, -1
	s_add_u32 s46, s30, -10
	s_addc_u32 s47, s31, -1
	global_store_dword v1, v4, s[22:23] offset:40
	s_add_u32 s22, s22, 0xffffffd8
	s_addc_u32 s23, s23, -1
	s_cmp_lt_i32 s30, 20
	s_mov_b64 s[36:37], 0
	s_mov_b64 s[30:31], s[46:47]
	s_cselect_b64 s[48:49], -1, 0
	s_waitcnt vmcnt(1)
	global_store_dword v1, v5, s[24:25]
	s_mov_b64 s[24:25], s[40:41]
                                        ; implicit-def: $sgpr40_sgpr41
	s_andn2_b64 vcc, exec, s[48:49]
	s_cbranch_vccz .LBB11_67
.LBB11_65:                              ;   Parent Loop BB11_63 Depth=1
                                        ; =>  This Inner Loop Header: Depth=2
	global_load_dword v4, v1, s[22:23]
	s_mov_b64 s[36:37], -1
	s_waitcnt vmcnt(0)
	v_cmp_ngt_f32_e32 vcc, v4, v3
	s_cbranch_vccz .LBB11_64
; %bb.66:                               ;   in Loop: Header=BB11_63 Depth=1
                                        ; implicit-def: $sgpr24_sgpr25
                                        ; implicit-def: $sgpr22_sgpr23
	s_mov_b64 s[40:41], s[30:31]
                                        ; implicit-def: $sgpr46_sgpr47
.LBB11_67:                              ;   in Loop: Header=BB11_63 Depth=1
	s_andn2_b64 vcc, exec, s[36:37]
	s_cbranch_vccz .LBB11_62
; %bb.68:                               ;   in Loop: Header=BB11_63 Depth=1
	s_bfe_i64 s[40:41], s[46:47], 0x200000
	s_branch .LBB11_62
.LBB11_69:
	s_cmp_lt_i32 s35, 5
	s_cbranch_scc1 .LBB11_78
; %bb.70:
	s_add_u32 s14, s4, s10
	s_addc_u32 s15, s5, s11
	s_add_u32 s14, s14, 16
	s_addc_u32 s15, s15, 0
	;; [unrolled: 2-line block ×4, first 2 shown]
	s_mov_b64 s[18:19], 4
	s_mov_b32 s21, 0
	v_mov_b32_e32 v1, 0
	s_branch .LBB11_72
.LBB11_71:                              ;   in Loop: Header=BB11_72 Depth=1
	s_lshl_b64 s[22:23], s[40:41], 2
	s_add_u32 s24, s6, s22
	s_addc_u32 s25, s7, s23
	s_add_u32 s22, s50, s22
	s_addc_u32 s23, s54, s23
	;; [unrolled: 2-line block ×5, first 2 shown]
	s_cmp_lt_i32 s18, s35
	s_waitcnt vmcnt(1)
	global_store_dword v1, v3, s[24:25]
	s_waitcnt vmcnt(1)
	global_store_dword v1, v2, s[22:23]
	s_cbranch_scc0 .LBB11_78
.LBB11_72:                              ; =>This Loop Header: Depth=1
                                        ;     Child Loop BB11_74 Depth 2
	s_mov_b32 s20, s18
	s_lshl_b64 s[22:23], s[20:21], 2
	s_add_u32 s24, s6, s22
	s_addc_u32 s25, s7, s23
	s_add_u32 s22, s50, s22
	s_addc_u32 s23, s54, s23
	global_load_dword v3, v1, s[24:25]
	global_load_dword v2, v1, s[22:23]
	s_cmp_lt_u32 s18, 4
	s_mov_b64 s[40:41], s[20:21]
	s_mov_b64 s[30:31], s[16:17]
	;; [unrolled: 1-line block ×4, first 2 shown]
	s_cbranch_scc0 .LBB11_74
	s_branch .LBB11_71
.LBB11_73:                              ;   in Loop: Header=BB11_74 Depth=2
	global_load_dword v5, v1, s[22:23] offset:-16
	s_mov_b64 s[36:37], 0
	global_store_dword v1, v4, s[30:31]
	s_add_u32 s30, s22, -16
	s_addc_u32 s31, s23, -1
	s_add_u32 s46, s24, -4
	s_addc_u32 s47, s25, -1
	s_cmp_lt_i32 s24, 8
	s_mov_b64 s[24:25], s[46:47]
	s_cselect_b64 s[48:49], -1, 0
	s_waitcnt vmcnt(1)
	global_store_dword v1, v5, s[22:23]
	s_mov_b64 s[22:23], s[30:31]
	s_mov_b64 s[30:31], s[40:41]
                                        ; implicit-def: $sgpr40_sgpr41
	s_andn2_b64 vcc, exec, s[48:49]
	s_cbranch_vccz .LBB11_76
.LBB11_74:                              ;   Parent Loop BB11_72 Depth=1
                                        ; =>  This Inner Loop Header: Depth=2
	global_load_dword v4, v1, s[30:31] offset:-16
	s_add_u32 s40, s30, -16
	s_addc_u32 s41, s31, -1
	s_mov_b64 s[36:37], -1
	s_waitcnt vmcnt(0)
	v_cmp_ngt_f32_e32 vcc, v4, v3
	s_cbranch_vccz .LBB11_73
; %bb.75:                               ;   in Loop: Header=BB11_72 Depth=1
                                        ; implicit-def: $sgpr22_sgpr23
                                        ; implicit-def: $sgpr30_sgpr31
	s_mov_b64 s[40:41], s[24:25]
                                        ; implicit-def: $sgpr46_sgpr47
.LBB11_76:                              ;   in Loop: Header=BB11_72 Depth=1
	s_andn2_b64 vcc, exec, s[36:37]
	s_cbranch_vccz .LBB11_71
; %bb.77:                               ;   in Loop: Header=BB11_72 Depth=1
	s_bfe_i64 s[40:41], s[46:47], 0x200000
	s_branch .LBB11_71
.LBB11_78:
	s_cmp_lt_i32 s35, 2
	s_cbranch_scc1 .LBB11_87
; %bb.79:
	s_add_u32 s4, s4, s10
	s_addc_u32 s5, s5, s11
	s_add_u32 s4, s4, 4
	s_addc_u32 s5, s5, 0
	;; [unrolled: 2-line block ×4, first 2 shown]
	s_mov_b64 s[12:13], 1
	v_mov_b32_e32 v1, 0
	s_branch .LBB11_81
.LBB11_80:                              ;   in Loop: Header=BB11_81 Depth=1
	s_lshl_b64 s[14:15], s[14:15], 2
	s_add_u32 s16, s6, s14
	s_addc_u32 s17, s7, s15
	s_add_u32 s14, s50, s14
	s_addc_u32 s15, s54, s15
	;; [unrolled: 2-line block ×5, first 2 shown]
	s_cmp_ge_i32 s12, s35
	global_store_dword v1, v3, s[16:17]
	global_store_dword v1, v2, s[14:15]
	s_cbranch_scc1 .LBB11_87
.LBB11_81:                              ; =>This Loop Header: Depth=1
                                        ;     Child Loop BB11_83 Depth 2
	s_lshl_b64 s[14:15], s[12:13], 2
	s_and_b32 s15, s15, 3
	s_add_u32 s16, s6, s14
	s_addc_u32 s17, s7, s15
	s_add_u32 s14, s50, s14
	s_addc_u32 s15, s54, s15
	global_load_dword v3, v1, s[16:17]
	global_load_dword v2, v1, s[14:15]
	s_mov_b64 s[18:19], s[10:11]
	s_mov_b64 s[16:17], s[4:5]
	;; [unrolled: 1-line block ×3, first 2 shown]
	s_branch .LBB11_83
.LBB11_82:                              ;   in Loop: Header=BB11_83 Depth=2
	global_load_dword v5, v1, s[16:17] offset:-4
	s_mov_b64 s[20:21], 0
	global_store_dword v1, v4, s[18:19]
	s_add_u32 s18, s16, -4
	s_addc_u32 s19, s17, -1
	s_add_u32 s22, s14, -1
	s_addc_u32 s23, s15, -1
	s_cmp_lt_i32 s14, 2
	s_mov_b64 s[14:15], s[22:23]
	s_cselect_b64 s[30:31], -1, 0
	s_waitcnt vmcnt(1)
	global_store_dword v1, v5, s[16:17]
	s_mov_b64 s[16:17], s[18:19]
	s_mov_b64 s[18:19], s[24:25]
	s_andn2_b64 vcc, exec, s[30:31]
	s_cbranch_vccz .LBB11_85
.LBB11_83:                              ;   Parent Loop BB11_81 Depth=1
                                        ; =>  This Inner Loop Header: Depth=2
	global_load_dword v4, v1, s[18:19] offset:-4
	s_add_u32 s24, s18, -4
	s_addc_u32 s25, s19, -1
	s_mov_b64 s[20:21], -1
	s_waitcnt vmcnt(0)
	v_cmp_ngt_f32_e32 vcc, v4, v3
	s_cbranch_vccz .LBB11_82
; %bb.84:                               ;   in Loop: Header=BB11_81 Depth=1
                                        ; implicit-def: $sgpr16_sgpr17
                                        ; implicit-def: $sgpr18_sgpr19
                                        ; implicit-def: $sgpr22_sgpr23
.LBB11_85:                              ;   in Loop: Header=BB11_81 Depth=1
	s_andn2_b64 vcc, exec, s[20:21]
	s_cbranch_vccz .LBB11_80
; %bb.86:                               ;   in Loop: Header=BB11_81 Depth=1
	s_bfe_i64 s[14:15], s[22:23], 0x200000
	s_branch .LBB11_80
.LBB11_87:
	s_or_b64 exec, exec, s[8:9]
	s_cmp_lt_i32 s35, 2
	s_cselect_b64 s[10:11], -1, 0
	s_mov_b64 s[46:47], 0
	s_and_b64 vcc, exec, s[10:11]
	s_barrier
	s_cbranch_vccnz .LBB11_95
; %bb.88:
	s_add_i32 s20, s35, -1
	v_cmp_gt_u32_e32 vcc, s20, v0
	s_mov_b64 s[10:11], -1
	s_mov_b64 s[4:5], 0
	s_and_saveexec_b64 s[8:9], vcc
	s_cbranch_execz .LBB11_97
; %bb.89:
	s_add_u32 s21, s6, 4
	s_addc_u32 s22, s7, 0
	s_mov_b64 s[10:11], 0
	v_mov_b32_e32 v3, 0
	v_mov_b32_e32 v1, s7
	;; [unrolled: 1-line block ×3, first 2 shown]
                                        ; implicit-def: $sgpr12_sgpr13
	s_branch .LBB11_91
.LBB11_90:                              ;   in Loop: Header=BB11_91 Depth=1
	s_or_b64 exec, exec, s[18:19]
	s_xor_b64 s[14:15], s[14:15], -1
	s_and_b64 s[4:5], exec, s[4:5]
	s_or_b64 s[10:11], s[4:5], s[10:11]
	s_andn2_b64 s[4:5], s[12:13], exec
	s_and_b64 s[12:13], s[14:15], exec
	s_or_b64 s[12:13], s[4:5], s[12:13]
	s_andn2_b64 exec, exec, s[10:11]
	s_cbranch_execz .LBB11_96
.LBB11_91:                              ; =>This Inner Loop Header: Depth=1
	v_lshlrev_b64 v[4:5], 2, v[2:3]
	v_add_co_u32_e32 v4, vcc, s6, v4
	v_addc_co_u32_e32 v5, vcc, v1, v5, vcc
	global_load_dword v4, v[4:5], off
                                        ; implicit-def: $sgpr14_sgpr15
	s_waitcnt vmcnt(0)
	v_cmp_u_f32_e64 s[16:17], v4, v4
	v_cmp_o_f32_e32 vcc, v4, v4
	s_and_saveexec_b64 s[18:19], vcc
	s_cbranch_execz .LBB11_93
; %bb.92:                               ;   in Loop: Header=BB11_91 Depth=1
	v_ashrrev_i32_e32 v7, 31, v2
	v_mov_b32_e32 v6, v2
	v_lshlrev_b64 v[6:7], 2, v[6:7]
	v_mov_b32_e32 v5, s22
	v_add_co_u32_e32 v6, vcc, s21, v6
	v_addc_co_u32_e32 v7, vcc, v5, v7, vcc
	global_load_dword v5, v[6:7], off
	s_andn2_b64 s[16:17], s[16:17], exec
	s_mov_b64 s[14:15], -1
	s_waitcnt vmcnt(0)
	v_cmp_u_f32_e32 vcc, v5, v5
	v_cmp_le_f32_e64 s[4:5], v4, v5
	s_or_b64 s[4:5], vcc, s[4:5]
	s_and_b64 s[4:5], s[4:5], exec
	s_or_b64 s[16:17], s[16:17], s[4:5]
.LBB11_93:                              ;   in Loop: Header=BB11_91 Depth=1
	s_or_b64 exec, exec, s[18:19]
	s_mov_b64 s[4:5], -1
	s_and_saveexec_b64 s[18:19], s[16:17]
	s_cbranch_execz .LBB11_90
; %bb.94:                               ;   in Loop: Header=BB11_91 Depth=1
	v_add_u32_e32 v2, s55, v2
	v_cmp_le_u32_e32 vcc, s20, v2
	s_andn2_b64 s[14:15], s[14:15], exec
	s_orn2_b64 s[4:5], vcc, exec
	s_branch .LBB11_90
.LBB11_95:
	s_mov_b64 s[4:5], 0
	s_and_saveexec_b64 s[6:7], s[10:11]
	s_cbranch_execnz .LBB11_98
	s_branch .LBB11_99
.LBB11_96:
	s_or_b64 exec, exec, s[10:11]
	s_mov_b64 s[4:5], exec
	s_orn2_b64 s[10:11], s[12:13], exec
.LBB11_97:
	s_or_b64 exec, exec, s[8:9]
	s_and_saveexec_b64 s[6:7], s[10:11]
	s_cbranch_execz .LBB11_99
.LBB11_98:
	s_mov_b64 s[46:47], exec
	s_barrier
	s_andn2_b64 s[4:5], s[4:5], exec
.LBB11_99:
	s_or_b64 exec, exec, s[6:7]
	s_mov_b64 s[38:39], 0
	s_mov_b64 s[36:37], 0
	s_and_saveexec_b64 s[6:7], s[4:5]
	s_xor_b64 s[40:41], exec, s[6:7]
	s_cbranch_execz .LBB11_101
; %bb.100:
	s_add_u32 s8, s26, 0x58
	s_addc_u32 s9, s27, 0
	s_getpc_b64 s[4:5]
	s_add_u32 s4, s4, .str.5@rel32@lo+4
	s_addc_u32 s5, s5, .str.5@rel32@hi+12
	s_getpc_b64 s[6:7]
	s_add_u32 s6, s6, .str.6@rel32@lo+4
	s_addc_u32 s7, s7, .str.6@rel32@hi+12
	s_getpc_b64 s[10:11]
	s_add_u32 s10, s10, __PRETTY_FUNCTION__._ZN9rocsolver6v33100L20shell_sort_ascendingIfiEEvT0_PT_PS2_@rel32@lo+4
	s_addc_u32 s11, s11, __PRETTY_FUNCTION__._ZN9rocsolver6v33100L20shell_sort_ascendingIfiEEvT0_PT_PS2_@rel32@hi+12
	v_mov_b32_e32 v0, s4
	v_mov_b32_e32 v1, s5
	v_mov_b32_e32 v2, s6
	v_mov_b32_e32 v3, s7
	v_mov_b32_e32 v4, 0xea
	v_mov_b32_e32 v5, s10
	v_mov_b32_e32 v6, s11
	s_getpc_b64 s[12:13]
	s_add_u32 s12, s12, __assert_fail@rel32@lo+4
	s_addc_u32 s13, s13, __assert_fail@rel32@hi+12
	s_swappc_b64 s[30:31], s[12:13]
	s_mov_b64 s[36:37], exec
                                        ; implicit-def: $vgpr0
.LBB11_101:
	s_or_b64 exec, exec, s[40:41]
	s_and_b64 vcc, exec, s[38:39]
	s_cbranch_vccz .LBB11_23
.LBB11_102:
	v_add3_u32 v0, v42, v41, v43
	s_or_b64 s[46:47], s[46:47], exec
	s_and_saveexec_b64 s[38:39], s[46:47]
	s_cbranch_execz .LBB11_133
.LBB11_103:
	s_cmp_lt_i32 s35, 1
	s_barrier
	s_cbranch_scc1 .LBB11_122
; %bb.104:
	s_load_dwordx2 s[8:9], s[26:27], 0x28
	s_mul_i32 s10, s34, s45
	s_mul_i32 s12, s34, s44
	s_mov_b32 s11, 0
	v_cmp_eq_u32_e64 s[4:5], 0, v0
	s_waitcnt lgkmcnt(0)
	s_ashr_i32 s7, s8, 31
	s_mov_b32 s6, s8
	s_mul_hi_u32 s8, s34, s44
	s_add_i32 s13, s8, s10
	s_lshl_b64 s[12:13], s[12:13], 2
	s_add_u32 s8, s42, s12
	s_addc_u32 s10, s43, s13
	s_lshl_b64 s[6:7], s[6:7], 2
	s_add_u32 s24, s8, s6
	s_addc_u32 s25, s10, s7
	s_cmp_lg_u64 s[28:29], 0
	v_cmp_gt_i32_e64 s[6:7], s52, v0
	s_mov_b32 s30, s9
	s_cselect_b64 s[12:13], -1, 0
	v_cmp_gt_i32_e64 s[8:9], s53, v0
	v_mov_b32_e32 v1, 0
	s_mov_b32 s10, s11
	s_branch .LBB11_106
.LBB11_105:                             ;   in Loop: Header=BB11_106 Depth=1
	s_add_i32 s10, s10, 1
	s_cmp_eq_u32 s10, s35
	s_cbranch_scc1 .LBB11_122
.LBB11_106:                             ; =>This Loop Header: Depth=1
                                        ;     Child Loop BB11_109 Depth 2
                                        ;       Child Loop BB11_113 Depth 3
                                        ;       Child Loop BB11_118 Depth 3
	s_lshl_b64 s[14:15], s[10:11], 2
	s_add_u32 s14, s50, s14
	s_addc_u32 s15, s54, s15
	s_barrier
	global_load_dword v2, v1, s[14:15]
	s_waitcnt vmcnt(0)
	v_cmp_eq_u32_e32 vcc, s10, v2
	v_readfirstlane_b32 s16, v2
	s_cbranch_vccz .LBB11_109
	s_branch .LBB11_105
.LBB11_107:                             ;   in Loop: Header=BB11_109 Depth=2
	s_or_b64 exec, exec, s[18:19]
	s_waitcnt lgkmcnt(0)
	s_barrier
.LBB11_108:                             ;   in Loop: Header=BB11_109 Depth=2
	global_load_dword v2, v1, s[14:15]
	s_waitcnt vmcnt(0)
	v_cmp_ne_u32_e32 vcc, s10, v2
	v_readfirstlane_b32 s16, v2
	s_cbranch_vccz .LBB11_105
.LBB11_109:                             ;   Parent Loop BB11_106 Depth=1
                                        ; =>  This Loop Header: Depth=2
                                        ;       Child Loop BB11_113 Depth 3
                                        ;       Child Loop BB11_118 Depth 3
	s_ashr_i32 s17, s16, 31
	s_lshl_b64 s[18:19], s[16:17], 2
	s_add_u32 s18, s50, s18
	s_addc_u32 s19, s54, s19
	global_load_dword v2, v1, s[18:19]
	s_barrier
	s_waitcnt vmcnt(0)
	v_readfirstlane_b32 s17, v2
	s_and_saveexec_b64 s[20:21], s[4:5]
	s_cbranch_execz .LBB11_111
; %bb.110:                              ;   in Loop: Header=BB11_109 Depth=2
	v_mov_b32_e32 v2, s16
	global_store_dword v1, v2, s[18:19]
	v_mov_b32_e32 v2, s17
	global_store_dword v1, v2, s[14:15]
.LBB11_111:                             ;   in Loop: Header=BB11_109 Depth=2
	s_or_b64 exec, exec, s[20:21]
	s_barrier
	s_barrier
	s_and_saveexec_b64 s[18:19], s[6:7]
	s_cbranch_execz .LBB11_114
; %bb.112:                              ;   in Loop: Header=BB11_109 Depth=2
	s_mul_hi_i32 s21, s16, s30
	s_mul_i32 s20, s16, s30
	s_lshl_b64 s[20:21], s[20:21], 2
	s_mul_hi_i32 s41, s17, s30
	s_mul_i32 s40, s17, s30
	s_add_u32 s22, s24, s20
	s_addc_u32 s31, s25, s21
	s_lshl_b64 s[20:21], s[40:41], 2
	s_add_u32 s23, s24, s20
	s_addc_u32 s33, s25, s21
	s_mov_b64 s[20:21], 0
	v_mov_b32_e32 v4, s31
	v_mov_b32_e32 v5, s33
	;; [unrolled: 1-line block ×3, first 2 shown]
.LBB11_113:                             ;   Parent Loop BB11_106 Depth=1
                                        ;     Parent Loop BB11_109 Depth=2
                                        ; =>    This Inner Loop Header: Depth=3
	v_ashrrev_i32_e32 v3, 31, v2
	v_lshlrev_b64 v[6:7], 2, v[2:3]
	v_add_co_u32_e32 v8, vcc, s22, v6
	v_addc_co_u32_e32 v9, vcc, v4, v7, vcc
	v_add_co_u32_e32 v6, vcc, s23, v6
	v_addc_co_u32_e32 v7, vcc, v5, v7, vcc
	global_load_dword v3, v[6:7], off
	global_load_dword v10, v[8:9], off
	v_add_u32_e32 v2, s51, v2
	v_cmp_le_i32_e32 vcc, s52, v2
	s_or_b64 s[20:21], vcc, s[20:21]
	s_waitcnt vmcnt(1)
	global_store_dword v[8:9], v3, off
	s_waitcnt vmcnt(1)
	global_store_dword v[6:7], v10, off
	s_andn2_b64 exec, exec, s[20:21]
	s_cbranch_execnz .LBB11_113
.LBB11_114:                             ;   in Loop: Header=BB11_109 Depth=2
	s_or_b64 exec, exec, s[18:19]
	s_and_b64 vcc, exec, s[12:13]
	s_barrier
	s_cbranch_vccz .LBB11_108
; %bb.115:                              ;   in Loop: Header=BB11_109 Depth=2
	s_barrier
	s_and_saveexec_b64 s[18:19], s[8:9]
	s_cbranch_execz .LBB11_107
; %bb.116:                              ;   in Loop: Header=BB11_109 Depth=2
	s_add_i32 s31, s16, 1
	s_add_i32 s33, s17, 1
	s_mov_b64 s[16:17], 0
	v_mov_b32_e32 v2, v0
	s_branch .LBB11_118
.LBB11_117:                             ;   in Loop: Header=BB11_118 Depth=3
	s_or_b64 exec, exec, s[22:23]
	v_add_u32_e32 v2, s51, v2
	v_cmp_le_i32_e32 vcc, s53, v2
	s_or_b64 s[16:17], vcc, s[16:17]
	s_andn2_b64 exec, exec, s[16:17]
	s_cbranch_execz .LBB11_107
.LBB11_118:                             ;   Parent Loop BB11_106 Depth=1
                                        ;     Parent Loop BB11_109 Depth=2
                                        ; =>    This Inner Loop Header: Depth=3
	v_ashrrev_i32_e32 v3, 31, v2
	v_lshlrev_b64 v[4:5], 2, v[2:3]
	v_mov_b32_e32 v3, s29
	v_add_co_u32_e32 v4, vcc, s28, v4
	v_addc_co_u32_e32 v5, vcc, v3, v5, vcc
	flat_load_dword v6, v[4:5]
	v_mov_b32_e32 v3, s33
	s_waitcnt vmcnt(0) lgkmcnt(0)
	v_cmp_eq_u32_e64 s[20:21], s31, v6
	v_cmp_ne_u32_e32 vcc, s31, v6
	s_and_saveexec_b64 s[22:23], vcc
; %bb.119:                              ;   in Loop: Header=BB11_118 Depth=3
	v_cmp_eq_u32_e32 vcc, s33, v6
	s_andn2_b64 s[20:21], s[20:21], exec
	s_and_b64 s[40:41], vcc, exec
	v_mov_b32_e32 v3, s31
	s_or_b64 s[20:21], s[20:21], s[40:41]
; %bb.120:                              ;   in Loop: Header=BB11_118 Depth=3
	s_or_b64 exec, exec, s[22:23]
	s_and_saveexec_b64 s[22:23], s[20:21]
	s_cbranch_execz .LBB11_117
; %bb.121:                              ;   in Loop: Header=BB11_118 Depth=3
	flat_store_dword v[4:5], v3
	s_branch .LBB11_117
.LBB11_122:
	v_cmp_gt_u32_e32 vcc, s35, v0
	s_mov_b64 s[8:9], -1
	s_mov_b64 s[6:7], 0
	s_barrier
	s_and_saveexec_b64 s[4:5], vcc
	s_cbranch_execz .LBB11_128
; %bb.123:
	v_mov_b32_e32 v1, 0
	v_mov_b32_e32 v2, s54
                                        ; implicit-def: $sgpr8_sgpr9
                                        ; implicit-def: $sgpr12_sgpr13
                                        ; implicit-def: $sgpr10_sgpr11
	s_branch .LBB11_125
.LBB11_124:                             ;   in Loop: Header=BB11_125 Depth=1
	s_or_b64 exec, exec, s[14:15]
	s_xor_b64 s[14:15], s[10:11], -1
	s_and_b64 s[16:17], exec, s[12:13]
	s_or_b64 s[6:7], s[16:17], s[6:7]
	s_andn2_b64 s[8:9], s[8:9], exec
	s_and_b64 s[14:15], s[14:15], exec
	s_or_b64 s[8:9], s[8:9], s[14:15]
	s_andn2_b64 exec, exec, s[6:7]
	s_cbranch_execz .LBB11_127
.LBB11_125:                             ; =>This Inner Loop Header: Depth=1
	v_lshlrev_b64 v[4:5], 2, v[0:1]
	v_add_co_u32_e32 v4, vcc, s50, v4
	v_addc_co_u32_e32 v5, vcc, v2, v5, vcc
	global_load_dword v3, v[4:5], off
	s_or_b64 s[10:11], s[10:11], exec
	s_or_b64 s[12:13], s[12:13], exec
	s_waitcnt vmcnt(0)
	v_cmp_eq_u32_e32 vcc, v0, v3
	s_and_saveexec_b64 s[14:15], vcc
	s_cbranch_execz .LBB11_124
; %bb.126:                              ;   in Loop: Header=BB11_125 Depth=1
	v_add_u32_e32 v0, s51, v0
	v_cmp_le_u32_e32 vcc, s35, v0
	s_andn2_b64 s[12:13], s[12:13], exec
	s_and_b64 s[16:17], vcc, exec
	s_andn2_b64 s[10:11], s[10:11], exec
	s_or_b64 s[12:13], s[12:13], s[16:17]
	s_branch .LBB11_124
.LBB11_127:
	s_or_b64 exec, exec, s[6:7]
	s_mov_b64 s[6:7], exec
	s_orn2_b64 s[8:9], s[8:9], exec
.LBB11_128:
	s_or_b64 exec, exec, s[4:5]
	s_and_saveexec_b64 s[4:5], s[8:9]
	s_cbranch_execz .LBB11_130
; %bb.129:
	s_barrier
	s_barrier
	s_andn2_b64 s[6:7], s[6:7], exec
.LBB11_130:
	s_or_b64 exec, exec, s[4:5]
	s_mov_b64 s[4:5], s[36:37]
	s_and_saveexec_b64 s[8:9], s[6:7]
	s_xor_b64 s[28:29], exec, s[8:9]
	s_cbranch_execz .LBB11_132
; %bb.131:
	s_add_u32 s8, s26, 0x58
	s_addc_u32 s9, s27, 0
	s_getpc_b64 s[4:5]
	s_add_u32 s4, s4, .str.8@rel32@lo+4
	s_addc_u32 s5, s5, .str.8@rel32@hi+12
	s_getpc_b64 s[6:7]
	s_add_u32 s6, s6, .str.3@rel32@lo+4
	s_addc_u32 s7, s7, .str.3@rel32@hi+12
	s_getpc_b64 s[10:11]
	s_add_u32 s10, s10, __PRETTY_FUNCTION__._ZN9rocsolver6v33100L18syevx_permute_swapIfEEviiiPiPT_iS2_@rel32@lo+4
	s_addc_u32 s11, s11, __PRETTY_FUNCTION__._ZN9rocsolver6v33100L18syevx_permute_swapIfEEviiiPiPT_iS2_@rel32@hi+12
	v_mov_b32_e32 v0, s4
	v_mov_b32_e32 v1, s5
	;; [unrolled: 1-line block ×7, first 2 shown]
	s_getpc_b64 s[12:13]
	s_add_u32 s12, s12, __assert_fail@rel32@lo+4
	s_addc_u32 s13, s13, __assert_fail@rel32@hi+12
	s_swappc_b64 s[30:31], s[12:13]
	s_or_b64 s[4:5], s[36:37], exec
.LBB11_132:
	s_or_b64 exec, exec, s[28:29]
	s_andn2_b64 s[6:7], s[36:37], exec
	s_and_b64 s[4:5], s[4:5], exec
	s_or_b64 s[36:37], s[6:7], s[4:5]
.LBB11_133:
	s_or_b64 exec, exec, s[38:39]
	s_branch .LBB11_135
.LBB11_134:
	s_add_u32 s8, s26, 0x58
	s_addc_u32 s9, s27, 0
	s_getpc_b64 s[4:5]
	s_add_u32 s4, s4, .str.4@rel32@lo+4
	s_addc_u32 s5, s5, .str.4@rel32@hi+12
	s_getpc_b64 s[6:7]
	s_add_u32 s6, s6, .str.3@rel32@lo+4
	s_addc_u32 s7, s7, .str.3@rel32@hi+12
	s_getpc_b64 s[10:11]
	s_add_u32 s10, s10, __PRETTY_FUNCTION__._ZN9rocsolver6v33100L15syevx_sort_eigsIffPfEEviPiPT0_lT1_iilS3_lS3_S3_@rel32@lo+4
	s_addc_u32 s11, s11, __PRETTY_FUNCTION__._ZN9rocsolver6v33100L15syevx_sort_eigsIffPfEEviPiPT0_lT1_iilS3_lS3_S3_@rel32@hi+12
	v_mov_b32_e32 v0, s4
	v_mov_b32_e32 v1, s5
	;; [unrolled: 1-line block ×7, first 2 shown]
	s_getpc_b64 s[12:13]
	s_add_u32 s12, s12, __assert_fail@rel32@lo+4
	s_addc_u32 s13, s13, __assert_fail@rel32@hi+12
	s_swappc_b64 s[30:31], s[12:13]
	s_or_b64 s[36:37], s[36:37], exec
.LBB11_135:
	s_branch .LBB11_4
.LBB11_136:
	s_add_u32 s8, s26, 0x58
	s_addc_u32 s9, s27, 0
	s_getpc_b64 s[4:5]
	s_add_u32 s4, s4, .str.2@rel32@lo+4
	s_addc_u32 s5, s5, .str.2@rel32@hi+12
	s_getpc_b64 s[6:7]
	s_add_u32 s6, s6, .str.3@rel32@lo+4
	s_addc_u32 s7, s7, .str.3@rel32@hi+12
	s_getpc_b64 s[10:11]
	s_add_u32 s10, s10, __PRETTY_FUNCTION__._ZN9rocsolver6v33100L15syevx_sort_eigsIffPfEEviPiPT0_lT1_iilS3_lS3_S3_@rel32@lo+4
	s_addc_u32 s11, s11, __PRETTY_FUNCTION__._ZN9rocsolver6v33100L15syevx_sort_eigsIffPfEEviPiPT0_lT1_iilS3_lS3_S3_@rel32@hi+12
	v_mov_b32_e32 v0, s4
	v_mov_b32_e32 v1, s5
	;; [unrolled: 1-line block ×7, first 2 shown]
	s_getpc_b64 s[12:13]
	s_add_u32 s12, s12, __assert_fail@rel32@lo+4
	s_addc_u32 s13, s13, __assert_fail@rel32@hi+12
	s_swappc_b64 s[30:31], s[12:13]
	s_or_b64 s[36:37], s[36:37], exec
	s_and_saveexec_b64 s[4:5], s[36:37]
	s_cbranch_execz .LBB11_5
.LBB11_137:
	; divergent unreachable
	s_endpgm
	.section	.rodata,"a",@progbits
	.p2align	6, 0x0
	.amdhsa_kernel _ZN9rocsolver6v33100L15syevx_sort_eigsIffPfEEviPiPT0_lT1_iilS3_lS3_S3_
		.amdhsa_group_segment_fixed_size 0
		.amdhsa_private_segment_fixed_size 64
		.amdhsa_kernarg_size 344
		.amdhsa_user_sgpr_count 8
		.amdhsa_user_sgpr_private_segment_buffer 1
		.amdhsa_user_sgpr_dispatch_ptr 0
		.amdhsa_user_sgpr_queue_ptr 0
		.amdhsa_user_sgpr_kernarg_segment_ptr 1
		.amdhsa_user_sgpr_dispatch_id 0
		.amdhsa_user_sgpr_flat_scratch_init 1
		.amdhsa_user_sgpr_kernarg_preload_length 0
		.amdhsa_user_sgpr_kernarg_preload_offset 0
		.amdhsa_user_sgpr_private_segment_size 0
		.amdhsa_uses_dynamic_stack 0
		.amdhsa_system_sgpr_private_segment_wavefront_offset 1
		.amdhsa_system_sgpr_workgroup_id_x 1
		.amdhsa_system_sgpr_workgroup_id_y 1
		.amdhsa_system_sgpr_workgroup_id_z 0
		.amdhsa_system_sgpr_workgroup_info 0
		.amdhsa_system_vgpr_workitem_id 2
		.amdhsa_next_free_vgpr 54
		.amdhsa_next_free_sgpr 56
		.amdhsa_accum_offset 56
		.amdhsa_reserve_vcc 1
		.amdhsa_reserve_flat_scratch 1
		.amdhsa_float_round_mode_32 0
		.amdhsa_float_round_mode_16_64 0
		.amdhsa_float_denorm_mode_32 3
		.amdhsa_float_denorm_mode_16_64 3
		.amdhsa_dx10_clamp 1
		.amdhsa_ieee_mode 1
		.amdhsa_fp16_overflow 0
		.amdhsa_tg_split 0
		.amdhsa_exception_fp_ieee_invalid_op 0
		.amdhsa_exception_fp_denorm_src 0
		.amdhsa_exception_fp_ieee_div_zero 0
		.amdhsa_exception_fp_ieee_overflow 0
		.amdhsa_exception_fp_ieee_underflow 0
		.amdhsa_exception_fp_ieee_inexact 0
		.amdhsa_exception_int_div_zero 0
	.end_amdhsa_kernel
	.section	.text._ZN9rocsolver6v33100L15syevx_sort_eigsIffPfEEviPiPT0_lT1_iilS3_lS3_S3_,"axG",@progbits,_ZN9rocsolver6v33100L15syevx_sort_eigsIffPfEEviPiPT0_lT1_iilS3_lS3_S3_,comdat
.Lfunc_end11:
	.size	_ZN9rocsolver6v33100L15syevx_sort_eigsIffPfEEviPiPT0_lT1_iilS3_lS3_S3_, .Lfunc_end11-_ZN9rocsolver6v33100L15syevx_sort_eigsIffPfEEviPiPT0_lT1_iilS3_lS3_S3_
                                        ; -- End function
	.section	.AMDGPU.csdata,"",@progbits
; Kernel info:
; codeLenInByte = 4912
; NumSgprs: 62
; NumVgprs: 54
; NumAgprs: 0
; TotalNumVgprs: 54
; ScratchSize: 64
; MemoryBound: 0
; FloatMode: 240
; IeeeMode: 1
; LDSByteSize: 0 bytes/workgroup (compile time only)
; SGPRBlocks: 7
; VGPRBlocks: 6
; NumSGPRsForWavesPerEU: 62
; NumVGPRsForWavesPerEU: 54
; AccumOffset: 56
; Occupancy: 8
; WaveLimiterHint : 1
; COMPUTE_PGM_RSRC2:SCRATCH_EN: 1
; COMPUTE_PGM_RSRC2:USER_SGPR: 8
; COMPUTE_PGM_RSRC2:TRAP_HANDLER: 0
; COMPUTE_PGM_RSRC2:TGID_X_EN: 1
; COMPUTE_PGM_RSRC2:TGID_Y_EN: 1
; COMPUTE_PGM_RSRC2:TGID_Z_EN: 0
; COMPUTE_PGM_RSRC2:TIDIG_COMP_CNT: 2
; COMPUTE_PGM_RSRC3_GFX90A:ACCUM_OFFSET: 13
; COMPUTE_PGM_RSRC3_GFX90A:TG_SPLIT: 0
	.section	.text._ZN9rocsolver6v33100L19bdsvdx_reorder_vectIfPfEEv13rocblas_fill_iPiPT_lT0_iilS6_,"axG",@progbits,_ZN9rocsolver6v33100L19bdsvdx_reorder_vectIfPfEEv13rocblas_fill_iPiPT_lT0_iilS6_,comdat
	.globl	_ZN9rocsolver6v33100L19bdsvdx_reorder_vectIfPfEEv13rocblas_fill_iPiPT_lT0_iilS6_ ; -- Begin function _ZN9rocsolver6v33100L19bdsvdx_reorder_vectIfPfEEv13rocblas_fill_iPiPT_lT0_iilS6_
	.p2align	8
	.type	_ZN9rocsolver6v33100L19bdsvdx_reorder_vectIfPfEEv13rocblas_fill_iPiPT_lT0_iilS6_,@function
_ZN9rocsolver6v33100L19bdsvdx_reorder_vectIfPfEEv13rocblas_fill_iPiPT_lT0_iilS6_: ; @_ZN9rocsolver6v33100L19bdsvdx_reorder_vectIfPfEEv13rocblas_fill_iPiPT_lT0_iilS6_
; %bb.0:
	s_mov_b32 s16, s7
	s_load_dwordx8 s[8:15], s[4:5], 0x8
	s_load_dwordx2 s[6:7], s[4:5], 0x0
	s_ashr_i32 s17, s16, 31
	s_lshl_b64 s[0:1], s[16:17], 2
	s_waitcnt lgkmcnt(0)
	s_add_u32 s0, s8, s0
	s_addc_u32 s1, s9, s1
	s_load_dword s18, s[0:1], 0x0
	s_waitcnt lgkmcnt(0)
	s_cmp_le_i32 s18, s7
	s_cbranch_scc1 .LBB12_4
; %bb.1:
	v_cmp_eq_u32_e32 vcc, 0, v0
	s_and_saveexec_b64 s[2:3], vcc
	s_cbranch_execz .LBB12_3
; %bb.2:
	v_mov_b32_e32 v1, 0
	v_mov_b32_e32 v2, s7
	global_store_dword v1, v2, s[0:1]
.LBB12_3:
	s_or_b64 exec, exec, s[2:3]
	s_mov_b32 s18, s7
.LBB12_4:
	s_load_dwordx4 s[0:3], s[4:5], 0x30
	s_mul_i32 s8, s16, s7
	s_lshl_b32 s8, s8, 1
	s_ashr_i32 s9, s8, 31
	s_lshl_b64 s[8:9], s[8:9], 2
	s_waitcnt lgkmcnt(0)
	s_add_u32 s19, s2, s8
	s_addc_u32 s20, s3, s9
	v_cmp_gt_i32_e32 vcc, s18, v0
	s_and_saveexec_b64 s[2:3], vcc
	s_cbranch_execz .LBB12_7
; %bb.5:
	s_mul_i32 s8, s16, s13
	s_mul_hi_u32 s9, s16, s12
	s_add_i32 s8, s9, s8
	s_mul_i32 s9, s17, s12
	s_load_dword s13, s[4:5], 0x4c
	s_add_i32 s9, s8, s9
	s_mul_i32 s8, s16, s12
	s_lshl_b64 s[8:9], s[8:9], 2
	s_add_u32 s10, s10, s8
	s_addc_u32 s12, s11, s9
	s_waitcnt lgkmcnt(0)
	s_and_b32 s11, s13, 0xffff
	s_mov_b64 s[8:9], 0
	v_mov_b32_e32 v1, s20
	v_mov_b32_e32 v4, s12
	;; [unrolled: 1-line block ×3, first 2 shown]
.LBB12_6:                               ; =>This Inner Loop Header: Depth=1
	v_ashrrev_i32_e32 v3, 31, v2
	v_lshlrev_b64 v[6:7], 2, v[2:3]
	v_add_co_u32_e32 v8, vcc, s19, v6
	v_addc_co_u32_e32 v9, vcc, v1, v7, vcc
	global_load_dword v3, v[8:9], off
	v_add_co_u32_e32 v6, vcc, s10, v6
	v_add_u32_e32 v2, s11, v2
	v_addc_co_u32_e32 v7, vcc, v4, v7, vcc
	v_cmp_le_i32_e32 vcc, s18, v2
	s_or_b64 s[8:9], vcc, s[8:9]
	s_waitcnt vmcnt(0)
	v_xor_b32_e32 v3, 0x80000000, v3
	global_store_dword v[6:7], v3, off
	s_andn2_b64 exec, exec, s[8:9]
	s_cbranch_execnz .LBB12_6
.LBB12_7:
	s_or_b64 exec, exec, s[2:3]
	s_cmp_lt_i32 s18, 1
	s_barrier
	s_cbranch_scc1 .LBB12_23
; %bb.8:
	s_load_dwordx2 s[8:9], s[4:5], 0x28
	s_mul_i32 s1, s16, s1
	s_mul_hi_u32 s2, s16, s0
	s_add_i32 s1, s2, s1
	v_lshlrev_b32_e32 v1, 1, v0
	s_waitcnt lgkmcnt(0)
	s_ashr_i32 s3, s8, 31
	s_mov_b32 s2, s8
	s_mul_i32 s8, s17, s0
	s_add_i32 s1, s1, s8
	s_mul_i32 s0, s16, s0
	s_lshl_b64 s[0:1], s[0:1], 2
	s_add_u32 s8, s14, s0
	s_addc_u32 s10, s15, s1
	s_lshl_b64 s[0:1], s[2:3], 2
	s_add_u32 s8, s8, s0
	s_addc_u32 s16, s10, s1
	s_lshl_b32 s17, s7, 1
	s_add_u32 s10, s4, 64
	s_addc_u32 s11, s5, 0
	s_cmpk_lg_i32 s6, 0x79
	s_cselect_b64 s[4:5], -1, 0
	v_cndmask_b32_e64 v2, 0, 1, s[4:5]
	v_cmp_gt_i32_e64 s[0:1], s17, v0
	v_cmp_gt_i32_e64 s[2:3], s7, v0
	s_mov_b32 s6, 0
	v_cmp_ne_u32_e64 s[4:5], 1, v2
	s_mov_b32 s21, s7
	s_mov_b32 s22, 0
	s_branch .LBB12_11
.LBB12_9:                               ;   in Loop: Header=BB12_11 Depth=1
	s_or_b64 exec, exec, s[12:13]
.LBB12_10:                              ;   in Loop: Header=BB12_11 Depth=1
	s_add_i32 s22, s22, 1
	s_add_i32 s6, s6, s9
	;; [unrolled: 1-line block ×3, first 2 shown]
	s_cmp_lg_u32 s22, s18
	s_barrier
	s_cbranch_scc0 .LBB12_23
.LBB12_11:                              ; =>This Loop Header: Depth=1
                                        ;     Child Loop BB12_13 Depth 2
                                        ;     Child Loop BB12_17 Depth 2
	;; [unrolled: 1-line block ×3, first 2 shown]
	s_and_saveexec_b64 s[12:13], s[0:1]
	s_cbranch_execz .LBB12_14
; %bb.12:                               ;   in Loop: Header=BB12_11 Depth=1
	s_load_dword s23, s[10:11], 0xc
	s_mov_b64 s[14:15], 0
	v_mov_b32_e32 v2, v0
	s_waitcnt lgkmcnt(0)
	s_and_b32 s23, s23, 0xffff
.LBB12_13:                              ;   Parent Loop BB12_11 Depth=1
                                        ; =>  This Inner Loop Header: Depth=2
	v_add_u32_e32 v4, s6, v2
	v_ashrrev_i32_e32 v5, 31, v4
	v_lshlrev_b64 v[4:5], 2, v[4:5]
	v_mov_b32_e32 v3, s16
	v_add_co_u32_e32 v4, vcc, s8, v4
	v_addc_co_u32_e32 v5, vcc, v3, v5, vcc
	global_load_dword v6, v[4:5], off
	v_ashrrev_i32_e32 v3, 31, v2
	v_lshlrev_b64 v[4:5], 2, v[2:3]
	v_mov_b32_e32 v7, s20
	v_add_co_u32_e32 v4, vcc, s19, v4
	v_add_u32_e32 v2, s23, v2
	v_addc_co_u32_e32 v5, vcc, v7, v5, vcc
	v_cmp_le_i32_e32 vcc, s17, v2
	s_or_b64 s[14:15], vcc, s[14:15]
	s_waitcnt vmcnt(0)
	global_store_dword v[4:5], v6, off
	s_andn2_b64 exec, exec, s[14:15]
	s_cbranch_execnz .LBB12_13
.LBB12_14:                              ;   in Loop: Header=BB12_11 Depth=1
	s_or_b64 exec, exec, s[12:13]
	s_and_b64 vcc, exec, s[4:5]
	s_mov_b64 s[12:13], -1
	s_barrier
	s_cbranch_vccnz .LBB12_19
; %bb.15:                               ;   in Loop: Header=BB12_11 Depth=1
	s_and_saveexec_b64 s[12:13], s[2:3]
	s_cbranch_execz .LBB12_18
; %bb.16:                               ;   in Loop: Header=BB12_11 Depth=1
	s_load_dword s23, s[10:11], 0xc
	s_mov_b64 s[14:15], 0
	v_mov_b32_e32 v2, v1
	v_mov_b32_e32 v4, v0
	s_waitcnt lgkmcnt(0)
	s_and_b32 s23, s23, 0xffff
	s_lshl_b32 s24, s23, 1
.LBB12_17:                              ;   Parent Loop BB12_11 Depth=1
                                        ; =>  This Inner Loop Header: Depth=2
	v_ashrrev_i32_e32 v3, 31, v2
	v_lshlrev_b64 v[6:7], 2, v[2:3]
	v_mov_b32_e32 v5, s20
	v_add_co_u32_e32 v6, vcc, s19, v6
	v_addc_co_u32_e32 v7, vcc, v5, v7, vcc
	global_load_dword v3, v[6:7], off
	v_add_u32_e32 v8, s6, v4
	v_ashrrev_i32_e32 v9, 31, v8
	v_lshlrev_b64 v[8:9], 2, v[8:9]
	v_mov_b32_e32 v5, s16
	v_add_co_u32_e32 v8, vcc, s8, v8
	v_addc_co_u32_e32 v9, vcc, v5, v9, vcc
	v_add_u32_e32 v2, s24, v2
	s_waitcnt vmcnt(0)
	v_mul_f32_e32 v3, 0x3fb504f3, v3
	global_store_dword v[8:9], v3, off
	global_load_dword v3, v[6:7], off offset:4
	v_add_u32_e32 v6, s21, v4
	v_add_u32_e32 v4, s23, v4
	v_ashrrev_i32_e32 v7, 31, v6
	v_cmp_le_i32_e32 vcc, s7, v4
	v_lshlrev_b64 v[6:7], 2, v[6:7]
	s_or_b64 s[14:15], vcc, s[14:15]
	v_add_co_u32_e32 v6, vcc, s8, v6
	v_addc_co_u32_e32 v7, vcc, v5, v7, vcc
	s_waitcnt vmcnt(0)
	v_mul_f32_e32 v3, 0xbfb504f3, v3
	global_store_dword v[6:7], v3, off
	s_andn2_b64 exec, exec, s[14:15]
	s_cbranch_execnz .LBB12_17
.LBB12_18:                              ;   in Loop: Header=BB12_11 Depth=1
	s_or_b64 exec, exec, s[12:13]
	s_mov_b64 s[12:13], 0
.LBB12_19:                              ;   in Loop: Header=BB12_11 Depth=1
	s_andn2_b64 vcc, exec, s[12:13]
	s_cbranch_vccnz .LBB12_10
; %bb.20:                               ;   in Loop: Header=BB12_11 Depth=1
	s_and_saveexec_b64 s[12:13], s[2:3]
	s_cbranch_execz .LBB12_9
; %bb.21:                               ;   in Loop: Header=BB12_11 Depth=1
	s_load_dword s23, s[10:11], 0xc
	s_mov_b64 s[14:15], 0
	v_mov_b32_e32 v2, v1
	v_mov_b32_e32 v4, v0
	s_waitcnt lgkmcnt(0)
	s_and_b32 s23, s23, 0xffff
	s_lshl_b32 s24, s23, 1
.LBB12_22:                              ;   Parent Loop BB12_11 Depth=1
                                        ; =>  This Inner Loop Header: Depth=2
	v_ashrrev_i32_e32 v3, 31, v2
	v_lshlrev_b64 v[6:7], 2, v[2:3]
	v_mov_b32_e32 v5, s20
	v_add_co_u32_e32 v6, vcc, s19, v6
	v_addc_co_u32_e32 v7, vcc, v5, v7, vcc
	global_load_dword v3, v[6:7], off offset:4
	v_add_u32_e32 v8, s6, v4
	v_ashrrev_i32_e32 v9, 31, v8
	v_lshlrev_b64 v[8:9], 2, v[8:9]
	v_mov_b32_e32 v5, s16
	v_add_co_u32_e32 v8, vcc, s8, v8
	v_addc_co_u32_e32 v9, vcc, v5, v9, vcc
	v_add_u32_e32 v2, s24, v2
	s_waitcnt vmcnt(0)
	v_mul_f32_e32 v3, 0x3fb504f3, v3
	global_store_dword v[8:9], v3, off
	global_load_dword v3, v[6:7], off
	v_add_u32_e32 v6, s21, v4
	v_add_u32_e32 v4, s23, v4
	v_ashrrev_i32_e32 v7, 31, v6
	v_cmp_le_i32_e32 vcc, s7, v4
	v_lshlrev_b64 v[6:7], 2, v[6:7]
	s_or_b64 s[14:15], vcc, s[14:15]
	v_add_co_u32_e32 v6, vcc, s8, v6
	v_addc_co_u32_e32 v7, vcc, v5, v7, vcc
	s_waitcnt vmcnt(0)
	v_mul_f32_e32 v3, 0xbfb504f3, v3
	global_store_dword v[6:7], v3, off
	s_andn2_b64 exec, exec, s[14:15]
	s_cbranch_execnz .LBB12_22
	s_branch .LBB12_9
.LBB12_23:
	s_endpgm
	.section	.rodata,"a",@progbits
	.p2align	6, 0x0
	.amdhsa_kernel _ZN9rocsolver6v33100L19bdsvdx_reorder_vectIfPfEEv13rocblas_fill_iPiPT_lT0_iilS6_
		.amdhsa_group_segment_fixed_size 0
		.amdhsa_private_segment_fixed_size 0
		.amdhsa_kernarg_size 320
		.amdhsa_user_sgpr_count 6
		.amdhsa_user_sgpr_private_segment_buffer 1
		.amdhsa_user_sgpr_dispatch_ptr 0
		.amdhsa_user_sgpr_queue_ptr 0
		.amdhsa_user_sgpr_kernarg_segment_ptr 1
		.amdhsa_user_sgpr_dispatch_id 0
		.amdhsa_user_sgpr_flat_scratch_init 0
		.amdhsa_user_sgpr_kernarg_preload_length 0
		.amdhsa_user_sgpr_kernarg_preload_offset 0
		.amdhsa_user_sgpr_private_segment_size 0
		.amdhsa_uses_dynamic_stack 0
		.amdhsa_system_sgpr_private_segment_wavefront_offset 0
		.amdhsa_system_sgpr_workgroup_id_x 1
		.amdhsa_system_sgpr_workgroup_id_y 1
		.amdhsa_system_sgpr_workgroup_id_z 0
		.amdhsa_system_sgpr_workgroup_info 0
		.amdhsa_system_vgpr_workitem_id 0
		.amdhsa_next_free_vgpr 10
		.amdhsa_next_free_sgpr 25
		.amdhsa_accum_offset 12
		.amdhsa_reserve_vcc 1
		.amdhsa_reserve_flat_scratch 0
		.amdhsa_float_round_mode_32 0
		.amdhsa_float_round_mode_16_64 0
		.amdhsa_float_denorm_mode_32 3
		.amdhsa_float_denorm_mode_16_64 3
		.amdhsa_dx10_clamp 1
		.amdhsa_ieee_mode 1
		.amdhsa_fp16_overflow 0
		.amdhsa_tg_split 0
		.amdhsa_exception_fp_ieee_invalid_op 0
		.amdhsa_exception_fp_denorm_src 0
		.amdhsa_exception_fp_ieee_div_zero 0
		.amdhsa_exception_fp_ieee_overflow 0
		.amdhsa_exception_fp_ieee_underflow 0
		.amdhsa_exception_fp_ieee_inexact 0
		.amdhsa_exception_int_div_zero 0
	.end_amdhsa_kernel
	.section	.text._ZN9rocsolver6v33100L19bdsvdx_reorder_vectIfPfEEv13rocblas_fill_iPiPT_lT0_iilS6_,"axG",@progbits,_ZN9rocsolver6v33100L19bdsvdx_reorder_vectIfPfEEv13rocblas_fill_iPiPT_lT0_iilS6_,comdat
.Lfunc_end12:
	.size	_ZN9rocsolver6v33100L19bdsvdx_reorder_vectIfPfEEv13rocblas_fill_iPiPT_lT0_iilS6_, .Lfunc_end12-_ZN9rocsolver6v33100L19bdsvdx_reorder_vectIfPfEEv13rocblas_fill_iPiPT_lT0_iilS6_
                                        ; -- End function
	.section	.AMDGPU.csdata,"",@progbits
; Kernel info:
; codeLenInByte = 1048
; NumSgprs: 29
; NumVgprs: 10
; NumAgprs: 0
; TotalNumVgprs: 10
; ScratchSize: 0
; MemoryBound: 0
; FloatMode: 240
; IeeeMode: 1
; LDSByteSize: 0 bytes/workgroup (compile time only)
; SGPRBlocks: 3
; VGPRBlocks: 1
; NumSGPRsForWavesPerEU: 29
; NumVGPRsForWavesPerEU: 10
; AccumOffset: 12
; Occupancy: 8
; WaveLimiterHint : 0
; COMPUTE_PGM_RSRC2:SCRATCH_EN: 0
; COMPUTE_PGM_RSRC2:USER_SGPR: 6
; COMPUTE_PGM_RSRC2:TRAP_HANDLER: 0
; COMPUTE_PGM_RSRC2:TGID_X_EN: 1
; COMPUTE_PGM_RSRC2:TGID_Y_EN: 1
; COMPUTE_PGM_RSRC2:TGID_Z_EN: 0
; COMPUTE_PGM_RSRC2:TIDIG_COMP_CNT: 0
; COMPUTE_PGM_RSRC3_GFX90A:ACCUM_OFFSET: 2
; COMPUTE_PGM_RSRC3_GFX90A:TG_SPLIT: 0
	.section	.text._ZN9rocsolver6v33100L10reset_infoIdiiEEvPT_T0_T1_S4_,"axG",@progbits,_ZN9rocsolver6v33100L10reset_infoIdiiEEvPT_T0_T1_S4_,comdat
	.globl	_ZN9rocsolver6v33100L10reset_infoIdiiEEvPT_T0_T1_S4_ ; -- Begin function _ZN9rocsolver6v33100L10reset_infoIdiiEEvPT_T0_T1_S4_
	.p2align	8
	.type	_ZN9rocsolver6v33100L10reset_infoIdiiEEvPT_T0_T1_S4_,@function
_ZN9rocsolver6v33100L10reset_infoIdiiEEvPT_T0_T1_S4_: ; @_ZN9rocsolver6v33100L10reset_infoIdiiEEvPT_T0_T1_S4_
; %bb.0:
	s_load_dword s7, s[4:5], 0x24
	s_load_dwordx4 s[0:3], s[4:5], 0x8
	s_waitcnt lgkmcnt(0)
	s_and_b32 s3, s7, 0xffff
	s_mul_i32 s6, s6, s3
	v_add_u32_e32 v0, s6, v0
	v_cmp_gt_i32_e32 vcc, s0, v0
	s_and_saveexec_b64 s[6:7], vcc
	s_cbranch_execz .LBB13_2
; %bb.1:
	s_load_dwordx2 s[4:5], s[4:5], 0x0
	v_mul_lo_u32 v1, v0, s2
	v_cvt_f64_i32_e32 v[4:5], v1
	v_ashrrev_i32_e32 v1, 31, v0
	v_cvt_f64_i32_e32 v[2:3], s1
	v_lshlrev_b64 v[0:1], 3, v[0:1]
	v_add_f64 v[2:3], v[2:3], v[4:5]
	s_waitcnt lgkmcnt(0)
	v_mov_b32_e32 v4, s5
	v_add_co_u32_e32 v0, vcc, s4, v0
	v_addc_co_u32_e32 v1, vcc, v4, v1, vcc
	global_store_dwordx2 v[0:1], v[2:3], off
.LBB13_2:
	s_endpgm
	.section	.rodata,"a",@progbits
	.p2align	6, 0x0
	.amdhsa_kernel _ZN9rocsolver6v33100L10reset_infoIdiiEEvPT_T0_T1_S4_
		.amdhsa_group_segment_fixed_size 0
		.amdhsa_private_segment_fixed_size 0
		.amdhsa_kernarg_size 280
		.amdhsa_user_sgpr_count 6
		.amdhsa_user_sgpr_private_segment_buffer 1
		.amdhsa_user_sgpr_dispatch_ptr 0
		.amdhsa_user_sgpr_queue_ptr 0
		.amdhsa_user_sgpr_kernarg_segment_ptr 1
		.amdhsa_user_sgpr_dispatch_id 0
		.amdhsa_user_sgpr_flat_scratch_init 0
		.amdhsa_user_sgpr_kernarg_preload_length 0
		.amdhsa_user_sgpr_kernarg_preload_offset 0
		.amdhsa_user_sgpr_private_segment_size 0
		.amdhsa_uses_dynamic_stack 0
		.amdhsa_system_sgpr_private_segment_wavefront_offset 0
		.amdhsa_system_sgpr_workgroup_id_x 1
		.amdhsa_system_sgpr_workgroup_id_y 0
		.amdhsa_system_sgpr_workgroup_id_z 0
		.amdhsa_system_sgpr_workgroup_info 0
		.amdhsa_system_vgpr_workitem_id 0
		.amdhsa_next_free_vgpr 6
		.amdhsa_next_free_sgpr 8
		.amdhsa_accum_offset 8
		.amdhsa_reserve_vcc 1
		.amdhsa_reserve_flat_scratch 0
		.amdhsa_float_round_mode_32 0
		.amdhsa_float_round_mode_16_64 0
		.amdhsa_float_denorm_mode_32 3
		.amdhsa_float_denorm_mode_16_64 3
		.amdhsa_dx10_clamp 1
		.amdhsa_ieee_mode 1
		.amdhsa_fp16_overflow 0
		.amdhsa_tg_split 0
		.amdhsa_exception_fp_ieee_invalid_op 0
		.amdhsa_exception_fp_denorm_src 0
		.amdhsa_exception_fp_ieee_div_zero 0
		.amdhsa_exception_fp_ieee_overflow 0
		.amdhsa_exception_fp_ieee_underflow 0
		.amdhsa_exception_fp_ieee_inexact 0
		.amdhsa_exception_int_div_zero 0
	.end_amdhsa_kernel
	.section	.text._ZN9rocsolver6v33100L10reset_infoIdiiEEvPT_T0_T1_S4_,"axG",@progbits,_ZN9rocsolver6v33100L10reset_infoIdiiEEvPT_T0_T1_S4_,comdat
.Lfunc_end13:
	.size	_ZN9rocsolver6v33100L10reset_infoIdiiEEvPT_T0_T1_S4_, .Lfunc_end13-_ZN9rocsolver6v33100L10reset_infoIdiiEEvPT_T0_T1_S4_
                                        ; -- End function
	.section	.AMDGPU.csdata,"",@progbits
; Kernel info:
; codeLenInByte = 120
; NumSgprs: 12
; NumVgprs: 6
; NumAgprs: 0
; TotalNumVgprs: 6
; ScratchSize: 0
; MemoryBound: 0
; FloatMode: 240
; IeeeMode: 1
; LDSByteSize: 0 bytes/workgroup (compile time only)
; SGPRBlocks: 1
; VGPRBlocks: 0
; NumSGPRsForWavesPerEU: 12
; NumVGPRsForWavesPerEU: 6
; AccumOffset: 8
; Occupancy: 8
; WaveLimiterHint : 0
; COMPUTE_PGM_RSRC2:SCRATCH_EN: 0
; COMPUTE_PGM_RSRC2:USER_SGPR: 6
; COMPUTE_PGM_RSRC2:TRAP_HANDLER: 0
; COMPUTE_PGM_RSRC2:TGID_X_EN: 1
; COMPUTE_PGM_RSRC2:TGID_Y_EN: 0
; COMPUTE_PGM_RSRC2:TGID_Z_EN: 0
; COMPUTE_PGM_RSRC2:TIDIG_COMP_CNT: 0
; COMPUTE_PGM_RSRC3_GFX90A:ACCUM_OFFSET: 1
; COMPUTE_PGM_RSRC3_GFX90A:TG_SPLIT: 0
	.section	.text._ZN9rocsolver6v33100L8copy_matIdPdS2_NS0_7no_maskEEEviiT0_iilT1_iilT2_13rocblas_fill_17rocblas_diagonal_,"axG",@progbits,_ZN9rocsolver6v33100L8copy_matIdPdS2_NS0_7no_maskEEEviiT0_iilT1_iilT2_13rocblas_fill_17rocblas_diagonal_,comdat
	.globl	_ZN9rocsolver6v33100L8copy_matIdPdS2_NS0_7no_maskEEEviiT0_iilT1_iilT2_13rocblas_fill_17rocblas_diagonal_ ; -- Begin function _ZN9rocsolver6v33100L8copy_matIdPdS2_NS0_7no_maskEEEviiT0_iilT1_iilT2_13rocblas_fill_17rocblas_diagonal_
	.p2align	8
	.type	_ZN9rocsolver6v33100L8copy_matIdPdS2_NS0_7no_maskEEEviiT0_iilT1_iilT2_13rocblas_fill_17rocblas_diagonal_,@function
_ZN9rocsolver6v33100L8copy_matIdPdS2_NS0_7no_maskEEEviiT0_iilT1_iilT2_13rocblas_fill_17rocblas_diagonal_: ; @_ZN9rocsolver6v33100L8copy_matIdPdS2_NS0_7no_maskEEEviiT0_iilT1_iilT2_13rocblas_fill_17rocblas_diagonal_
; %bb.0:
	s_load_dword s2, s[4:5], 0x54
	s_load_dwordx2 s[0:1], s[4:5], 0x0
	v_bfe_u32 v1, v0, 10, 10
	v_and_b32_e32 v0, 0x3ff, v0
	s_waitcnt lgkmcnt(0)
	s_lshr_b32 s3, s2, 16
	s_and_b32 s2, s2, 0xffff
	s_mul_i32 s7, s7, s3
	s_mul_i32 s6, s6, s2
	v_add_u32_e32 v1, s7, v1
	v_add_u32_e32 v0, s6, v0
	v_cmp_gt_u32_e32 vcc, s0, v0
	v_cmp_gt_u32_e64 s[0:1], s1, v1
	s_and_b64 s[0:1], s[0:1], vcc
	s_and_saveexec_b64 s[2:3], s[0:1]
	s_cbranch_execz .LBB14_14
; %bb.1:
	s_load_dwordx2 s[2:3], s[4:5], 0x3c
	s_waitcnt lgkmcnt(0)
	s_cmpk_lt_i32 s2, 0x7a
	s_cbranch_scc1 .LBB14_4
; %bb.2:
	s_cmpk_gt_i32 s2, 0x7a
	s_cbranch_scc0 .LBB14_5
; %bb.3:
	s_cmpk_lg_i32 s2, 0x7b
	s_mov_b64 s[6:7], -1
	s_cselect_b64 s[10:11], -1, 0
	s_cbranch_execz .LBB14_6
	s_branch .LBB14_7
.LBB14_4:
	s_mov_b64 s[10:11], 0
	s_mov_b64 s[6:7], 0
	s_cbranch_execnz .LBB14_8
	s_branch .LBB14_10
.LBB14_5:
	s_mov_b64 s[6:7], 0
	s_mov_b64 s[10:11], 0
.LBB14_6:
	v_cmp_gt_u32_e32 vcc, v0, v1
	v_cmp_le_u32_e64 s[0:1], v0, v1
	s_andn2_b64 s[6:7], s[6:7], exec
	s_and_b64 s[12:13], vcc, exec
	s_andn2_b64 s[10:11], s[10:11], exec
	s_and_b64 s[0:1], s[0:1], exec
	s_or_b64 s[6:7], s[6:7], s[12:13]
	s_or_b64 s[10:11], s[10:11], s[0:1]
.LBB14_7:
	s_branch .LBB14_10
.LBB14_8:
	s_cmpk_eq_i32 s2, 0x79
	s_mov_b64 s[10:11], -1
	s_cbranch_scc0 .LBB14_10
; %bb.9:
	v_cmp_gt_u32_e32 vcc, v1, v0
	v_cmp_le_u32_e64 s[0:1], v1, v0
	s_andn2_b64 s[6:7], s[6:7], exec
	s_and_b64 s[10:11], vcc, exec
	s_or_b64 s[6:7], s[6:7], s[10:11]
	s_orn2_b64 s[10:11], s[0:1], exec
.LBB14_10:
	s_and_saveexec_b64 s[0:1], s[10:11]
; %bb.11:
	s_cmpk_eq_i32 s3, 0x83
	s_cselect_b64 s[2:3], -1, 0
	v_cmp_eq_u32_e32 vcc, v0, v1
	s_and_b64 s[2:3], s[2:3], vcc
	s_andn2_b64 s[6:7], s[6:7], exec
	s_and_b64 s[2:3], s[2:3], exec
	s_or_b64 s[6:7], s[6:7], s[2:3]
; %bb.12:
	s_or_b64 exec, exec, s[0:1]
	s_and_b64 exec, exec, s[6:7]
	s_cbranch_execz .LBB14_14
; %bb.13:
	s_load_dwordx8 s[12:19], s[4:5], 0x8
	s_waitcnt lgkmcnt(0)
	s_mul_i32 s3, s8, s17
	s_mul_hi_u32 s6, s8, s16
	s_mul_i32 s2, s8, s16
	s_add_i32 s3, s6, s3
	s_ashr_i32 s1, s14, 31
	s_lshl_b64 s[2:3], s[2:3], 3
	s_mov_b32 s0, s14
	s_add_u32 s2, s12, s2
	s_addc_u32 s3, s13, s3
	s_lshl_b64 s[0:1], s[0:1], 3
	s_add_u32 s2, s2, s0
	s_addc_u32 s3, s3, s1
	v_mad_u64_u32 v[2:3], s[0:1], v1, s15, v[0:1]
	v_mov_b32_e32 v3, 0
	v_lshlrev_b64 v[4:5], 3, v[2:3]
	v_mov_b32_e32 v2, s3
	v_add_co_u32_e32 v4, vcc, s2, v4
	v_addc_co_u32_e32 v5, vcc, v2, v5, vcc
	global_load_dwordx2 v[4:5], v[4:5], off
	s_load_dwordx4 s[0:3], s[4:5], 0x28
	s_waitcnt lgkmcnt(0)
	s_ashr_i32 s5, s0, 31
	s_mov_b32 s4, s0
	s_mul_i32 s0, s8, s3
	s_mul_hi_u32 s3, s8, s2
	s_add_i32 s3, s3, s0
	s_mul_i32 s2, s8, s2
	s_lshl_b64 s[2:3], s[2:3], 3
	s_add_u32 s0, s18, s2
	s_addc_u32 s6, s19, s3
	s_lshl_b64 s[2:3], s[4:5], 3
	s_add_u32 s2, s0, s2
	v_mad_u64_u32 v[0:1], s[0:1], v1, s1, v[0:1]
	v_mov_b32_e32 v1, v3
	s_addc_u32 s3, s6, s3
	v_lshlrev_b64 v[0:1], 3, v[0:1]
	v_mov_b32_e32 v2, s3
	v_add_co_u32_e32 v0, vcc, s2, v0
	v_addc_co_u32_e32 v1, vcc, v2, v1, vcc
	s_waitcnt vmcnt(0)
	global_store_dwordx2 v[0:1], v[4:5], off
.LBB14_14:
	s_endpgm
	.section	.rodata,"a",@progbits
	.p2align	6, 0x0
	.amdhsa_kernel _ZN9rocsolver6v33100L8copy_matIdPdS2_NS0_7no_maskEEEviiT0_iilT1_iilT2_13rocblas_fill_17rocblas_diagonal_
		.amdhsa_group_segment_fixed_size 0
		.amdhsa_private_segment_fixed_size 0
		.amdhsa_kernarg_size 328
		.amdhsa_user_sgpr_count 6
		.amdhsa_user_sgpr_private_segment_buffer 1
		.amdhsa_user_sgpr_dispatch_ptr 0
		.amdhsa_user_sgpr_queue_ptr 0
		.amdhsa_user_sgpr_kernarg_segment_ptr 1
		.amdhsa_user_sgpr_dispatch_id 0
		.amdhsa_user_sgpr_flat_scratch_init 0
		.amdhsa_user_sgpr_kernarg_preload_length 0
		.amdhsa_user_sgpr_kernarg_preload_offset 0
		.amdhsa_user_sgpr_private_segment_size 0
		.amdhsa_uses_dynamic_stack 0
		.amdhsa_system_sgpr_private_segment_wavefront_offset 0
		.amdhsa_system_sgpr_workgroup_id_x 1
		.amdhsa_system_sgpr_workgroup_id_y 1
		.amdhsa_system_sgpr_workgroup_id_z 1
		.amdhsa_system_sgpr_workgroup_info 0
		.amdhsa_system_vgpr_workitem_id 1
		.amdhsa_next_free_vgpr 6
		.amdhsa_next_free_sgpr 20
		.amdhsa_accum_offset 8
		.amdhsa_reserve_vcc 1
		.amdhsa_reserve_flat_scratch 0
		.amdhsa_float_round_mode_32 0
		.amdhsa_float_round_mode_16_64 0
		.amdhsa_float_denorm_mode_32 3
		.amdhsa_float_denorm_mode_16_64 3
		.amdhsa_dx10_clamp 1
		.amdhsa_ieee_mode 1
		.amdhsa_fp16_overflow 0
		.amdhsa_tg_split 0
		.amdhsa_exception_fp_ieee_invalid_op 0
		.amdhsa_exception_fp_denorm_src 0
		.amdhsa_exception_fp_ieee_div_zero 0
		.amdhsa_exception_fp_ieee_overflow 0
		.amdhsa_exception_fp_ieee_underflow 0
		.amdhsa_exception_fp_ieee_inexact 0
		.amdhsa_exception_int_div_zero 0
	.end_amdhsa_kernel
	.section	.text._ZN9rocsolver6v33100L8copy_matIdPdS2_NS0_7no_maskEEEviiT0_iilT1_iilT2_13rocblas_fill_17rocblas_diagonal_,"axG",@progbits,_ZN9rocsolver6v33100L8copy_matIdPdS2_NS0_7no_maskEEEviiT0_iilT1_iilT2_13rocblas_fill_17rocblas_diagonal_,comdat
.Lfunc_end14:
	.size	_ZN9rocsolver6v33100L8copy_matIdPdS2_NS0_7no_maskEEEviiT0_iilT1_iilT2_13rocblas_fill_17rocblas_diagonal_, .Lfunc_end14-_ZN9rocsolver6v33100L8copy_matIdPdS2_NS0_7no_maskEEEviiT0_iilT1_iilT2_13rocblas_fill_17rocblas_diagonal_
                                        ; -- End function
	.section	.AMDGPU.csdata,"",@progbits
; Kernel info:
; codeLenInByte = 492
; NumSgprs: 24
; NumVgprs: 6
; NumAgprs: 0
; TotalNumVgprs: 6
; ScratchSize: 0
; MemoryBound: 0
; FloatMode: 240
; IeeeMode: 1
; LDSByteSize: 0 bytes/workgroup (compile time only)
; SGPRBlocks: 2
; VGPRBlocks: 0
; NumSGPRsForWavesPerEU: 24
; NumVGPRsForWavesPerEU: 6
; AccumOffset: 8
; Occupancy: 8
; WaveLimiterHint : 0
; COMPUTE_PGM_RSRC2:SCRATCH_EN: 0
; COMPUTE_PGM_RSRC2:USER_SGPR: 6
; COMPUTE_PGM_RSRC2:TRAP_HANDLER: 0
; COMPUTE_PGM_RSRC2:TGID_X_EN: 1
; COMPUTE_PGM_RSRC2:TGID_Y_EN: 1
; COMPUTE_PGM_RSRC2:TGID_Z_EN: 1
; COMPUTE_PGM_RSRC2:TIDIG_COMP_CNT: 1
; COMPUTE_PGM_RSRC3_GFX90A:ACCUM_OFFSET: 1
; COMPUTE_PGM_RSRC3_GFX90A:TG_SPLIT: 0
	.section	.text._ZN9rocsolver6v33100L18stebz_case1_kernelIdPdEEv15rocblas_erange_T_S4_T0_ilPiS6_PS4_lS6_lS6_li,"axG",@progbits,_ZN9rocsolver6v33100L18stebz_case1_kernelIdPdEEv15rocblas_erange_T_S4_T0_ilPiS6_PS4_lS6_lS6_li,comdat
	.globl	_ZN9rocsolver6v33100L18stebz_case1_kernelIdPdEEv15rocblas_erange_T_S4_T0_ilPiS6_PS4_lS6_lS6_li ; -- Begin function _ZN9rocsolver6v33100L18stebz_case1_kernelIdPdEEv15rocblas_erange_T_S4_T0_ilPiS6_PS4_lS6_lS6_li
	.p2align	8
	.type	_ZN9rocsolver6v33100L18stebz_case1_kernelIdPdEEv15rocblas_erange_T_S4_T0_ilPiS6_PS4_lS6_lS6_li,@function
_ZN9rocsolver6v33100L18stebz_case1_kernelIdPdEEv15rocblas_erange_T_S4_T0_ilPiS6_PS4_lS6_lS6_li: ; @_ZN9rocsolver6v33100L18stebz_case1_kernelIdPdEEv15rocblas_erange_T_S4_T0_ilPiS6_PS4_lS6_lS6_li
; %bb.0:
	s_load_dword s0, s[4:5], 0x84
	s_load_dword s1, s[4:5], 0x70
	s_waitcnt lgkmcnt(0)
	s_and_b32 s0, s0, 0xffff
	s_mul_i32 s6, s6, s0
	v_add_u32_e32 v0, s6, v0
	v_cmp_gt_i32_e32 vcc, s1, v0
	s_and_saveexec_b64 s[0:1], vcc
	s_cbranch_execz .LBB15_7
; %bb.1:
	s_load_dword s0, s[4:5], 0x20
	s_load_dwordx16 s[8:23], s[4:5], 0x28
	s_load_dwordx2 s[2:3], s[4:5], 0x18
	v_ashrrev_i32_e32 v1, 31, v0
	v_mov_b32_e32 v10, 1
	s_waitcnt lgkmcnt(0)
	s_ashr_i32 s1, s0, 31
	v_mul_lo_u32 v4, v0, s9
	v_mul_lo_u32 v5, v1, s8
	v_mad_u64_u32 v[2:3], s[6:7], v0, s8, 0
	s_lshl_b64 s[0:1], s[0:1], 3
	v_add3_u32 v3, v3, v4, v5
	s_add_u32 s0, s0, s2
	v_lshlrev_b64 v[2:3], 3, v[2:3]
	s_addc_u32 s1, s1, s3
	v_mov_b32_e32 v4, s1
	v_add_co_u32_e32 v2, vcc, s0, v2
	v_addc_co_u32_e32 v3, vcc, v4, v3, vcc
	global_load_dwordx2 v[4:5], v[2:3], off
	s_load_dwordx2 s[0:1], s[4:5], 0x68
	s_load_dword s2, s[4:5], 0x0
	v_mov_b32_e32 v9, s13
	s_waitcnt lgkmcnt(0)
	v_mul_lo_u32 v6, v0, s1
	v_mul_lo_u32 v7, v1, s0
	v_mad_u64_u32 v[2:3], s[0:1], v0, s0, 0
	v_add3_u32 v3, v3, v6, v7
	v_lshlrev_b64 v[2:3], 2, v[2:3]
	v_mov_b32_e32 v7, s23
	v_add_co_u32_e32 v6, vcc, s22, v2
	v_addc_co_u32_e32 v7, vcc, v7, v3, vcc
	v_lshlrev_b64 v[2:3], 2, v[0:1]
	v_add_co_u32_e32 v8, vcc, s12, v2
	s_cmpk_lg_i32 s2, 0xe8
	v_addc_co_u32_e32 v9, vcc, v9, v3, vcc
	s_cselect_b64 s[6:7], -1, 0
	s_and_b64 vcc, exec, s[6:7]
	global_store_dword v[8:9], v10, off
	global_store_dword v[6:7], v10, off
	s_cbranch_vccnz .LBB15_3
; %bb.2:
	s_load_dwordx4 s[24:27], s[4:5], 0x8
	s_andn2_b64 s[4:5], s[6:7], exec
	s_mov_b64 s[2:3], -1
	s_waitcnt vmcnt(2) lgkmcnt(0)
	v_cmp_nge_f64_e32 vcc, s[24:25], v[4:5]
	v_cmp_nlt_f64_e64 s[0:1], s[26:27], v[4:5]
	s_and_b64 s[0:1], vcc, s[0:1]
	s_and_b64 s[0:1], s[0:1], exec
	s_or_b64 s[6:7], s[4:5], s[0:1]
	s_and_saveexec_b64 s[0:1], s[6:7]
	s_xor_b64 s[0:1], exec, s[0:1]
	s_cbranch_execnz .LBB15_4
	s_branch .LBB15_5
.LBB15_3:
	s_mov_b64 s[2:3], 0
	s_and_saveexec_b64 s[0:1], s[6:7]
	s_xor_b64 s[0:1], exec, s[0:1]
	s_cbranch_execz .LBB15_5
.LBB15_4:
	v_mul_lo_u32 v8, v1, s16
	v_mul_lo_u32 v9, v0, s17
	v_mad_u64_u32 v[6:7], s[4:5], v0, s16, 0
	v_add3_u32 v7, v7, v9, v8
	v_lshlrev_b64 v[6:7], 3, v[6:7]
	v_mov_b32_e32 v8, s15
	v_add_co_u32_e32 v6, vcc, s14, v6
	v_addc_co_u32_e32 v7, vcc, v8, v7, vcc
	v_mul_lo_u32 v8, v1, s20
	v_mul_lo_u32 v9, v0, s21
	v_mad_u64_u32 v[0:1], s[4:5], v0, s20, 0
	v_add3_u32 v1, v1, v9, v8
	v_lshlrev_b64 v[0:1], 2, v[0:1]
	v_mov_b32_e32 v8, s19
	v_add_co_u32_e32 v0, vcc, s18, v0
	v_addc_co_u32_e32 v1, vcc, v8, v1, vcc
	v_mov_b32_e32 v9, s11
	v_add_co_u32_e32 v8, vcc, s10, v2
	v_addc_co_u32_e32 v9, vcc, v9, v3, vcc
	v_mov_b32_e32 v10, 1
	global_store_dword v[8:9], v10, off
	s_waitcnt vmcnt(3)
	global_store_dwordx2 v[6:7], v[4:5], off
	global_store_dword v[0:1], v10, off
	s_andn2_b64 s[2:3], s[2:3], exec
.LBB15_5:
	s_or_b64 exec, exec, s[0:1]
	s_and_b64 exec, exec, s[2:3]
	s_cbranch_execz .LBB15_7
; %bb.6:
	v_mov_b32_e32 v1, s11
	v_add_co_u32_e32 v0, vcc, s10, v2
	v_addc_co_u32_e32 v1, vcc, v1, v3, vcc
	v_mov_b32_e32 v2, 0
	global_store_dword v[0:1], v2, off
.LBB15_7:
	s_endpgm
	.section	.rodata,"a",@progbits
	.p2align	6, 0x0
	.amdhsa_kernel _ZN9rocsolver6v33100L18stebz_case1_kernelIdPdEEv15rocblas_erange_T_S4_T0_ilPiS6_PS4_lS6_lS6_li
		.amdhsa_group_segment_fixed_size 0
		.amdhsa_private_segment_fixed_size 0
		.amdhsa_kernarg_size 376
		.amdhsa_user_sgpr_count 6
		.amdhsa_user_sgpr_private_segment_buffer 1
		.amdhsa_user_sgpr_dispatch_ptr 0
		.amdhsa_user_sgpr_queue_ptr 0
		.amdhsa_user_sgpr_kernarg_segment_ptr 1
		.amdhsa_user_sgpr_dispatch_id 0
		.amdhsa_user_sgpr_flat_scratch_init 0
		.amdhsa_user_sgpr_kernarg_preload_length 0
		.amdhsa_user_sgpr_kernarg_preload_offset 0
		.amdhsa_user_sgpr_private_segment_size 0
		.amdhsa_uses_dynamic_stack 0
		.amdhsa_system_sgpr_private_segment_wavefront_offset 0
		.amdhsa_system_sgpr_workgroup_id_x 1
		.amdhsa_system_sgpr_workgroup_id_y 0
		.amdhsa_system_sgpr_workgroup_id_z 0
		.amdhsa_system_sgpr_workgroup_info 0
		.amdhsa_system_vgpr_workitem_id 0
		.amdhsa_next_free_vgpr 11
		.amdhsa_next_free_sgpr 28
		.amdhsa_accum_offset 12
		.amdhsa_reserve_vcc 1
		.amdhsa_reserve_flat_scratch 0
		.amdhsa_float_round_mode_32 0
		.amdhsa_float_round_mode_16_64 0
		.amdhsa_float_denorm_mode_32 3
		.amdhsa_float_denorm_mode_16_64 3
		.amdhsa_dx10_clamp 1
		.amdhsa_ieee_mode 1
		.amdhsa_fp16_overflow 0
		.amdhsa_tg_split 0
		.amdhsa_exception_fp_ieee_invalid_op 0
		.amdhsa_exception_fp_denorm_src 0
		.amdhsa_exception_fp_ieee_div_zero 0
		.amdhsa_exception_fp_ieee_overflow 0
		.amdhsa_exception_fp_ieee_underflow 0
		.amdhsa_exception_fp_ieee_inexact 0
		.amdhsa_exception_int_div_zero 0
	.end_amdhsa_kernel
	.section	.text._ZN9rocsolver6v33100L18stebz_case1_kernelIdPdEEv15rocblas_erange_T_S4_T0_ilPiS6_PS4_lS6_lS6_li,"axG",@progbits,_ZN9rocsolver6v33100L18stebz_case1_kernelIdPdEEv15rocblas_erange_T_S4_T0_ilPiS6_PS4_lS6_lS6_li,comdat
.Lfunc_end15:
	.size	_ZN9rocsolver6v33100L18stebz_case1_kernelIdPdEEv15rocblas_erange_T_S4_T0_ilPiS6_PS4_lS6_lS6_li, .Lfunc_end15-_ZN9rocsolver6v33100L18stebz_case1_kernelIdPdEEv15rocblas_erange_T_S4_T0_ilPiS6_PS4_lS6_lS6_li
                                        ; -- End function
	.section	.AMDGPU.csdata,"",@progbits
; Kernel info:
; codeLenInByte = 552
; NumSgprs: 32
; NumVgprs: 11
; NumAgprs: 0
; TotalNumVgprs: 11
; ScratchSize: 0
; MemoryBound: 0
; FloatMode: 240
; IeeeMode: 1
; LDSByteSize: 0 bytes/workgroup (compile time only)
; SGPRBlocks: 3
; VGPRBlocks: 1
; NumSGPRsForWavesPerEU: 32
; NumVGPRsForWavesPerEU: 11
; AccumOffset: 12
; Occupancy: 8
; WaveLimiterHint : 0
; COMPUTE_PGM_RSRC2:SCRATCH_EN: 0
; COMPUTE_PGM_RSRC2:USER_SGPR: 6
; COMPUTE_PGM_RSRC2:TRAP_HANDLER: 0
; COMPUTE_PGM_RSRC2:TGID_X_EN: 1
; COMPUTE_PGM_RSRC2:TGID_Y_EN: 0
; COMPUTE_PGM_RSRC2:TGID_Z_EN: 0
; COMPUTE_PGM_RSRC2:TIDIG_COMP_CNT: 0
; COMPUTE_PGM_RSRC3_GFX90A:ACCUM_OFFSET: 2
; COMPUTE_PGM_RSRC3_GFX90A:TG_SPLIT: 0
	.section	.text._ZN9rocsolver6v33100L22stebz_splitting_kernelIdPdEEv15rocblas_erange_iT_S4_iiT0_iiS5_iiPiPS4_lS6_lS6_S7_S7_S7_S7_S6_S4_S4_,"axG",@progbits,_ZN9rocsolver6v33100L22stebz_splitting_kernelIdPdEEv15rocblas_erange_iT_S4_iiT0_iiS5_iiPiPS4_lS6_lS6_S7_S7_S7_S7_S6_S4_S4_,comdat
	.globl	_ZN9rocsolver6v33100L22stebz_splitting_kernelIdPdEEv15rocblas_erange_iT_S4_iiT0_iiS5_iiPiPS4_lS6_lS6_S7_S7_S7_S7_S6_S4_S4_ ; -- Begin function _ZN9rocsolver6v33100L22stebz_splitting_kernelIdPdEEv15rocblas_erange_iT_S4_iiT0_iiS5_iiPiPS4_lS6_lS6_S7_S7_S7_S7_S6_S4_S4_
	.p2align	8
	.type	_ZN9rocsolver6v33100L22stebz_splitting_kernelIdPdEEv15rocblas_erange_iT_S4_iiT0_iiS5_iiPiPS4_lS6_lS6_S7_S7_S7_S7_S6_S4_S4_,@function
_ZN9rocsolver6v33100L22stebz_splitting_kernelIdPdEEv15rocblas_erange_iT_S4_iiT0_iiS5_iiPiPS4_lS6_lS6_S7_S7_S7_S7_S6_S4_S4_: ; @_ZN9rocsolver6v33100L22stebz_splitting_kernelIdPdEEv15rocblas_erange_iT_S4_iiT0_iiS5_iiPiPS4_lS6_lS6_S7_S7_S7_S7_S6_S4_S4_
; %bb.0:
	s_load_dwordx2 s[34:35], s[4:5], 0x0
	s_mov_b32 s40, s7
	v_mov_b32_e32 v2, 0
	v_mov_b32_e32 v6, 0
	s_waitcnt lgkmcnt(0)
	s_add_i32 s33, s35, -1
	s_ashr_i32 s0, s33, 31
	s_lshr_b32 s0, s0, 24
	s_add_i32 s0, s33, s0
	s_ashr_i32 s1, s0, 8
	s_and_b32 s0, s0, 0xffffff00
	s_sub_i32 s0, s33, s0
	v_mov_b32_e32 v1, s1
	v_cmp_gt_i32_e32 vcc, s0, v0
	v_addc_co_u32_e32 v22, vcc, 0, v1, vcc
	v_lshlrev_b32_e32 v1, 2, v0
	v_cmp_eq_u32_e64 s[0:1], 0, v0
	v_cmp_ne_u32_e32 vcc, 0, v0
	ds_write_b32 v1, v22 offset:2048
	s_waitcnt lgkmcnt(0)
	s_barrier
	s_and_saveexec_b64 s[6:7], vcc
	s_cbranch_execz .LBB16_16
; %bb.1:
	v_cmp_lt_u32_e64 s[2:3], 3, v0
	s_mov_b64 s[10:11], -1
	s_mov_b32 s12, 0
	v_mov_b32_e32 v6, 0
	v_mov_b32_e32 v3, 0
	s_and_saveexec_b64 s[8:9], s[2:3]
	s_cbranch_execz .LBB16_11
; %bb.2:
	v_add_u32_e32 v4, -4, v0
	v_lshrrev_b32_e32 v3, 2, v4
	s_mov_b32 s13, s12
	v_add_u32_e32 v3, 1, v3
	v_cmp_lt_u32_e64 s[2:3], 27, v4
	v_pk_mov_b32 v[6:7], s[12:13], s[12:13] op_sel:[0,1]
	v_mov_b32_e32 v9, 0
	v_pk_mov_b32 v[4:5], s[12:13], s[12:13] op_sel:[0,1]
	s_and_saveexec_b64 s[10:11], s[2:3]
	s_cbranch_execz .LBB16_6
; %bb.3:
	v_and_b32_e32 v8, 0x7ffffff8, v3
	s_mov_b32 s14, 0
	s_movk_i32 s15, 0x800
	s_mov_b64 s[12:13], 0
	v_mov_b32_e32 v4, 0
	v_mov_b32_e32 v5, 0
	;; [unrolled: 1-line block ×4, first 2 shown]
.LBB16_4:                               ; =>This Inner Loop Header: Depth=1
	v_mov_b32_e32 v9, s15
	ds_read_b128 v[10:13], v9
	ds_read_b128 v[14:17], v9 offset:16
	ds_read_b128 v[18:21], v9 offset:32
	;; [unrolled: 1-line block ×7, first 2 shown]
	s_waitcnt lgkmcnt(7)
	v_add_u32_e32 v4, v10, v4
	v_add_u32_e32 v5, v11, v5
	v_add_u32_e32 v6, v12, v6
	v_add_u32_e32 v7, v13, v7
	s_waitcnt lgkmcnt(6)
	v_add_u32_e32 v5, v15, v5
	v_add_u32_e32 v4, v14, v4
	v_add_u32_e32 v7, v17, v7
	v_add_u32_e32 v6, v16, v6
	;; [unrolled: 5-line block ×5, first 2 shown]
	v_add_u32_e32 v8, -8, v8
	s_waitcnt lgkmcnt(2)
	v_add_u32_e32 v5, v33, v5
	v_add_u32_e32 v4, v32, v4
	;; [unrolled: 1-line block ×4, first 2 shown]
	s_add_i32 s14, s14, 32
	s_addk_i32 s15, 0x80
	v_cmp_eq_u32_e64 s[2:3], 0, v8
	s_waitcnt lgkmcnt(1)
	v_add_u32_e32 v4, v36, v4
	v_add_u32_e32 v5, v37, v5
	;; [unrolled: 1-line block ×4, first 2 shown]
	v_mov_b32_e32 v9, s14
	s_or_b64 s[12:13], s[2:3], s[12:13]
	s_waitcnt lgkmcnt(0)
	v_add_u32_e32 v5, v41, v5
	v_add_u32_e32 v4, v40, v4
	;; [unrolled: 1-line block ×4, first 2 shown]
	s_andn2_b64 exec, exec, s[12:13]
	s_cbranch_execnz .LBB16_4
; %bb.5:
	s_or_b64 exec, exec, s[12:13]
.LBB16_6:
	s_or_b64 exec, exec, s[10:11]
	v_and_b32_e32 v3, 7, v3
	v_cmp_ne_u32_e64 s[2:3], 0, v3
	s_and_saveexec_b64 s[10:11], s[2:3]
	s_cbranch_execz .LBB16_10
; %bb.7:
	v_mov_b32_e32 v8, 0x800
	v_lshl_add_u32 v8, v9, 2, v8
	s_mov_b64 s[12:13], 0
.LBB16_8:                               ; =>This Inner Loop Header: Depth=1
	ds_read_b128 v[10:13], v8
	v_add_u32_e32 v3, -1, v3
	v_cmp_eq_u32_e64 s[2:3], 0, v3
	v_add_u32_e32 v8, 16, v8
	s_or_b64 s[12:13], s[2:3], s[12:13]
	s_waitcnt lgkmcnt(0)
	v_add_u32_e32 v5, v11, v5
	v_add_u32_e32 v4, v10, v4
	;; [unrolled: 1-line block ×4, first 2 shown]
	s_andn2_b64 exec, exec, s[12:13]
	s_cbranch_execnz .LBB16_8
; %bb.9:
	s_or_b64 exec, exec, s[12:13]
.LBB16_10:
	s_or_b64 exec, exec, s[10:11]
	v_and_b32_e32 v3, 0xfc, v0
	v_add_u32_e32 v5, v7, v5
	v_cmp_ne_u32_e64 s[2:3], v0, v3
	v_add3_u32 v6, v6, v4, v5
	s_orn2_b64 s[10:11], s[2:3], exec
.LBB16_11:
	s_or_b64 exec, exec, s[8:9]
	s_and_saveexec_b64 s[8:9], s[10:11]
	s_cbranch_execz .LBB16_15
; %bb.12:
	v_mov_b32_e32 v5, 0x800
	v_sub_u32_e32 v4, v0, v3
	v_lshl_or_b32 v3, v3, 2, v5
	s_mov_b64 s[10:11], 0
.LBB16_13:                              ; =>This Inner Loop Header: Depth=1
	ds_read_b32 v5, v3
	v_add_u32_e32 v4, -1, v4
	v_cmp_eq_u32_e64 s[2:3], 0, v4
	v_add_u32_e32 v3, 4, v3
	s_or_b64 s[10:11], s[2:3], s[10:11]
	s_waitcnt lgkmcnt(0)
	v_add_u32_e32 v6, v5, v6
	s_andn2_b64 exec, exec, s[10:11]
	s_cbranch_execnz .LBB16_13
; %bb.14:
	s_or_b64 exec, exec, s[10:11]
.LBB16_15:
	s_or_b64 exec, exec, s[8:9]
.LBB16_16:
	s_or_b64 exec, exec, s[6:7]
	s_load_dwordx4 s[36:39], s[4:5], 0x20
	s_load_dwordx16 s[8:23], s[4:5], 0x40
	s_load_dwordx2 s[46:47], s[4:5], 0xa0
	s_load_dwordx8 s[24:31], s[4:5], 0x80
	s_mul_i32 s2, s40, s35
	s_waitcnt lgkmcnt(0)
	s_ashr_i32 s43, s38, 31
	s_mov_b32 s42, s38
	s_mul_i32 s38, s33, s40
	s_ashr_i32 s3, s2, 31
	s_ashr_i32 s41, s40, 31
	s_mul_hi_i32 s45, s39, s40
	s_mul_i32 s44, s39, s40
	s_ashr_i32 s39, s38, 31
	s_lshl_b64 s[2:3], s[2:3], 2
	s_add_u32 s2, s18, s2
	v_ashrrev_i32_e32 v7, 31, v6
	s_addc_u32 s3, s19, s3
	v_lshlrev_b64 v[4:5], 2, v[6:7]
	s_mul_i32 s6, s40, s13
	s_mul_hi_u32 s7, s40, s12
	v_mov_b32_e32 v3, s3
	v_add_co_u32_e64 v4, s[2:3], s2, v4
	s_add_i32 s6, s7, s6
	s_mul_i32 s7, s41, s12
	v_addc_co_u32_e64 v5, s[2:3], v3, v5, s[2:3]
	s_add_i32 s19, s6, s7
	s_mul_i32 s18, s40, s12
	v_cmp_lt_i32_e64 s[2:3], 0, v22
	s_and_saveexec_b64 s[6:7], s[2:3]
	s_cbranch_execz .LBB16_22
; %bb.17:
	s_load_dwordx4 s[48:51], s[4:5], 0x30
	v_lshlrev_b64 v[2:3], 3, v[6:7]
	v_pk_mov_b32 v[16:17], s[46:47], s[46:47] op_sel:[0,1]
	s_waitcnt lgkmcnt(0)
	s_ashr_i32 s3, s50, 31
	s_mov_b32 s2, s50
	s_mul_hi_i32 s13, s40, s51
	s_mul_i32 s12, s40, s51
	s_lshl_b64 s[12:13], s[12:13], 3
	s_lshl_b64 s[2:3], s[2:3], 3
	s_add_u32 s2, s12, s2
	s_addc_u32 s3, s13, s3
	s_add_u32 s2, s48, s2
	s_addc_u32 s3, s49, s3
	v_mov_b32_e32 v7, s3
	v_add_co_u32_e64 v8, s[2:3], s2, v2
	v_addc_co_u32_e64 v9, s[2:3], v7, v3, s[2:3]
	s_lshl_b64 s[2:3], s[44:45], 3
	s_lshl_b64 s[12:13], s[42:43], 3
	s_add_u32 s2, s2, s12
	s_addc_u32 s3, s3, s13
	s_add_u32 s2, s36, s2
	s_addc_u32 s3, s37, s3
	v_mov_b32_e32 v7, s3
	v_add_co_u32_e64 v10, s[2:3], s2, v2
	v_addc_co_u32_e64 v11, s[2:3], v7, v3, s[2:3]
	s_lshl_b64 s[2:3], s[38:39], 3
	s_add_u32 s2, s22, s2
	s_addc_u32 s3, s23, s3
	v_mov_b32_e32 v7, s3
	v_add_co_u32_e64 v12, s[2:3], s2, v2
	v_addc_co_u32_e64 v13, s[2:3], v7, v3, s[2:3]
	s_lshl_b64 s[2:3], s[18:19], 3
	s_add_u32 s2, s10, s2
	s_addc_u32 s3, s11, s3
	v_mov_b32_e32 v7, s3
	v_add_co_u32_e64 v14, s[2:3], s2, v2
	v_addc_co_u32_e64 v15, s[2:3], v7, v3, s[2:3]
	s_mov_b64 s[12:13], 0
	v_mov_b32_e32 v2, 0
	s_branch .LBB16_19
.LBB16_18:                              ;   in Loop: Header=BB16_19 Depth=1
	s_or_b64 exec, exec, s[48:49]
	v_add_co_u32_e64 v8, s[2:3], 8, v8
	v_addc_co_u32_e64 v9, s[2:3], 0, v9, s[2:3]
	v_add_co_u32_e64 v10, s[2:3], 8, v10
	v_addc_co_u32_e64 v11, s[2:3], 0, v11, s[2:3]
	global_store_dwordx2 v[12:13], v[20:21], off
	global_store_dwordx2 v[14:15], v[18:19], off
	v_add_co_u32_e64 v12, s[2:3], 8, v12
	v_add_u32_e32 v22, -1, v22
	v_addc_co_u32_e64 v13, s[2:3], 0, v13, s[2:3]
	v_cmp_eq_u32_e64 s[2:3], 0, v22
	s_or_b64 s[12:13], s[2:3], s[12:13]
	v_add_co_u32_e64 v14, s[2:3], 8, v14
	v_add_u32_e32 v6, 1, v6
	v_addc_co_u32_e64 v15, s[2:3], 0, v15, s[2:3]
	s_andn2_b64 exec, exec, s[12:13]
	s_cbranch_execz .LBB16_21
.LBB16_19:                              ; =>This Inner Loop Header: Depth=1
	global_load_dwordx2 v[18:19], v[8:9], off
	global_load_dwordx4 v[24:27], v[10:11], off
	s_waitcnt vmcnt(1)
	v_mul_f64 v[20:21], v[18:19], v[18:19]
	s_waitcnt vmcnt(0)
	v_mul_f64 v[24:25], v[24:25], v[26:27]
	v_mul_f64 v[24:25], |v[24:25]|, s[30:31]
	v_fma_f64 v[24:25], s[30:31], v[24:25], v[16:17]
	v_cmp_gt_f64_e64 s[2:3], v[24:25], v[20:21]
	s_and_saveexec_b64 s[48:49], s[2:3]
	s_cbranch_execz .LBB16_18
; %bb.20:                               ;   in Loop: Header=BB16_19 Depth=1
	v_ashrrev_i32_e32 v3, 31, v2
	v_add_u32_e32 v7, 1, v2
	v_lshlrev_b64 v[2:3], 2, v[2:3]
	v_add_co_u32_e64 v2, s[2:3], v4, v2
	v_addc_co_u32_e64 v3, s[2:3], v5, v3, s[2:3]
	v_pk_mov_b32 v[20:21], 0, 0
	global_store_dword v[2:3], v6, off
	v_pk_mov_b32 v[18:19], v[20:21], v[20:21] op_sel:[0,1]
	v_mov_b32_e32 v2, v7
	s_branch .LBB16_18
.LBB16_21:
	s_or_b64 exec, exec, s[12:13]
.LBB16_22:
	s_or_b64 exec, exec, s[6:7]
	v_or_b32_e32 v1, 0x800, v1
	v_mov_b32_e32 v6, 0
	ds_write_b32 v1, v2
	s_waitcnt lgkmcnt(0)
	s_barrier
	s_and_saveexec_b64 s[2:3], vcc
	s_cbranch_execz .LBB16_38
; %bb.23:
	v_cmp_lt_u32_e32 vcc, 3, v0
	s_mov_b64 s[12:13], -1
	s_mov_b32 s48, 0
	v_mov_b32_e32 v6, 0
	v_mov_b32_e32 v3, 0
	s_and_saveexec_b64 s[6:7], vcc
	s_cbranch_execz .LBB16_33
; %bb.24:
	v_add_u32_e32 v6, -4, v0
	v_lshrrev_b32_e32 v3, 2, v6
	s_mov_b32 s49, s48
	v_add_u32_e32 v3, 1, v3
	v_cmp_lt_u32_e32 vcc, 27, v6
	v_pk_mov_b32 v[8:9], s[48:49], s[48:49] op_sel:[0,1]
	v_mov_b32_e32 v11, 0
	v_pk_mov_b32 v[6:7], s[48:49], s[48:49] op_sel:[0,1]
	s_and_saveexec_b64 s[12:13], vcc
	s_cbranch_execz .LBB16_28
; %bb.25:
	v_and_b32_e32 v10, 0x7ffffff8, v3
	s_mov_b32 s50, 0
	s_movk_i32 s51, 0x800
	s_mov_b64 s[48:49], 0
	v_mov_b32_e32 v6, 0
	v_mov_b32_e32 v7, 0
	;; [unrolled: 1-line block ×4, first 2 shown]
.LBB16_26:                              ; =>This Inner Loop Header: Depth=1
	v_mov_b32_e32 v11, s51
	ds_read_b128 v[12:15], v11
	ds_read_b128 v[16:19], v11 offset:16
	ds_read_b128 v[20:23], v11 offset:32
	;; [unrolled: 1-line block ×7, first 2 shown]
	s_waitcnt lgkmcnt(7)
	v_add_u32_e32 v6, v12, v6
	v_add_u32_e32 v7, v13, v7
	v_add_u32_e32 v8, v14, v8
	v_add_u32_e32 v9, v15, v9
	s_waitcnt lgkmcnt(6)
	v_add_u32_e32 v7, v17, v7
	v_add_u32_e32 v6, v16, v6
	v_add_u32_e32 v9, v19, v9
	v_add_u32_e32 v8, v18, v8
	;; [unrolled: 5-line block ×5, first 2 shown]
	v_add_u32_e32 v10, -8, v10
	s_waitcnt lgkmcnt(2)
	v_add_u32_e32 v7, v33, v7
	v_add_u32_e32 v6, v32, v6
	;; [unrolled: 1-line block ×4, first 2 shown]
	s_add_i32 s50, s50, 32
	s_addk_i32 s51, 0x80
	v_cmp_eq_u32_e32 vcc, 0, v10
	s_waitcnt lgkmcnt(1)
	v_add_u32_e32 v6, v36, v6
	v_add_u32_e32 v7, v37, v7
	;; [unrolled: 1-line block ×4, first 2 shown]
	v_mov_b32_e32 v11, s50
	s_or_b64 s[48:49], vcc, s[48:49]
	s_waitcnt lgkmcnt(0)
	v_add_u32_e32 v7, v41, v7
	v_add_u32_e32 v6, v40, v6
	;; [unrolled: 1-line block ×4, first 2 shown]
	s_andn2_b64 exec, exec, s[48:49]
	s_cbranch_execnz .LBB16_26
; %bb.27:
	s_or_b64 exec, exec, s[48:49]
.LBB16_28:
	s_or_b64 exec, exec, s[12:13]
	v_and_b32_e32 v3, 7, v3
	v_cmp_ne_u32_e32 vcc, 0, v3
	s_and_saveexec_b64 s[12:13], vcc
	s_cbranch_execz .LBB16_32
; %bb.29:
	v_mov_b32_e32 v10, 0x800
	v_lshl_add_u32 v10, v11, 2, v10
	s_mov_b64 s[48:49], 0
.LBB16_30:                              ; =>This Inner Loop Header: Depth=1
	ds_read_b128 v[12:15], v10
	v_add_u32_e32 v3, -1, v3
	v_cmp_eq_u32_e32 vcc, 0, v3
	v_add_u32_e32 v10, 16, v10
	s_or_b64 s[48:49], vcc, s[48:49]
	s_waitcnt lgkmcnt(0)
	v_add_u32_e32 v7, v13, v7
	v_add_u32_e32 v6, v12, v6
	;; [unrolled: 1-line block ×4, first 2 shown]
	s_andn2_b64 exec, exec, s[48:49]
	s_cbranch_execnz .LBB16_30
; %bb.31:
	s_or_b64 exec, exec, s[48:49]
.LBB16_32:
	s_or_b64 exec, exec, s[12:13]
	v_and_b32_e32 v3, 0xfc, v0
	v_add_u32_e32 v7, v9, v7
	v_cmp_ne_u32_e32 vcc, v0, v3
	v_add3_u32 v6, v8, v6, v7
	s_orn2_b64 s[12:13], vcc, exec
.LBB16_33:
	s_or_b64 exec, exec, s[6:7]
	s_and_saveexec_b64 s[6:7], s[12:13]
	s_cbranch_execz .LBB16_37
; %bb.34:
	v_mov_b32_e32 v8, 0x800
	v_sub_u32_e32 v7, v0, v3
	v_lshl_or_b32 v3, v3, 2, v8
	s_mov_b64 s[12:13], 0
.LBB16_35:                              ; =>This Inner Loop Header: Depth=1
	ds_read_b32 v8, v3
	v_add_u32_e32 v7, -1, v7
	v_cmp_eq_u32_e32 vcc, 0, v7
	v_add_u32_e32 v3, 4, v3
	s_or_b64 s[12:13], vcc, s[12:13]
	s_waitcnt lgkmcnt(0)
	v_add_u32_e32 v6, v8, v6
	s_andn2_b64 exec, exec, s[12:13]
	s_cbranch_execnz .LBB16_35
; %bb.36:
	s_or_b64 exec, exec, s[12:13]
.LBB16_37:
	s_or_b64 exec, exec, s[6:7]
.LBB16_38:
	s_or_b64 exec, exec, s[2:3]
	s_mul_i32 s2, s40, s17
	s_mul_hi_u32 s3, s40, s16
	s_add_i32 s2, s3, s2
	s_mul_i32 s3, s41, s16
	s_add_i32 s7, s2, s3
	s_mul_i32 s6, s40, s16
	v_cmp_lt_i32_e32 vcc, 0, v2
	s_and_saveexec_b64 s[2:3], vcc
	s_cbranch_execz .LBB16_41
; %bb.39:
	s_lshl_b64 s[12:13], s[6:7], 2
	v_ashrrev_i32_e32 v7, 31, v6
	s_add_u32 s12, s14, s12
	v_lshlrev_b64 v[8:9], 2, v[6:7]
	s_addc_u32 s13, s15, s13
	v_mov_b32_e32 v3, s13
	v_add_co_u32_e32 v8, vcc, s12, v8
	v_addc_co_u32_e32 v9, vcc, v3, v9, vcc
	s_mov_b64 s[12:13], 0
	v_mov_b32_e32 v3, v2
.LBB16_40:                              ; =>This Inner Loop Header: Depth=1
	global_load_dword v7, v[4:5], off
	v_add_co_u32_e32 v4, vcc, 4, v4
	v_add_u32_e32 v3, -1, v3
	v_addc_co_u32_e32 v5, vcc, 0, v5, vcc
	v_cmp_eq_u32_e32 vcc, 0, v3
	s_or_b64 s[12:13], vcc, s[12:13]
	s_waitcnt vmcnt(0)
	v_add_u32_e32 v7, 1, v7
	global_store_dword v[8:9], v7, off
	v_add_co_u32_e32 v8, vcc, 4, v8
	v_addc_co_u32_e32 v9, vcc, 0, v9, vcc
	s_andn2_b64 exec, exec, s[12:13]
	s_cbranch_execnz .LBB16_40
.LBB16_41:
	s_or_b64 exec, exec, s[2:3]
	s_movk_i32 s2, 0xff
	v_cmp_eq_u32_e64 s[2:3], s2, v0
	s_and_saveexec_b64 s[12:13], s[2:3]
	s_cbranch_execz .LBB16_43
; %bb.42:
	s_lshl_b64 s[16:17], s[40:41], 2
	s_add_u32 s8, s8, s16
	s_addc_u32 s9, s9, s17
	s_lshl_b64 s[6:7], s[6:7], 2
	v_add_u32_e32 v2, v6, v2
	s_add_u32 s6, s14, s6
	v_ashrrev_i32_e32 v3, 31, v2
	s_addc_u32 s7, s15, s7
	v_lshlrev_b64 v[4:5], 2, v[2:3]
	v_mov_b32_e32 v3, s7
	v_add_co_u32_e32 v4, vcc, s6, v4
	v_addc_co_u32_e32 v5, vcc, v3, v5, vcc
	v_mov_b32_e32 v3, s35
	v_mov_b32_e32 v7, 0
	v_add_u32_e32 v2, 1, v2
	global_store_dword v[4:5], v3, off
	global_store_dword v7, v2, s[8:9]
.LBB16_43:
	s_or_b64 exec, exec, s[12:13]
	v_cmp_gt_i32_e32 vcc, s33, v0
	v_bfrev_b32_e32 v7, -2
	v_pk_mov_b32 v[2:3], 0, 0
	v_lshlrev_b32_e32 v6, 3, v0
	s_barrier
	s_and_saveexec_b64 s[8:9], vcc
	s_cbranch_execz .LBB16_47
; %bb.44:
	s_lshl_b64 s[6:7], s[38:39], 3
	s_add_u32 s6, s22, s6
	s_addc_u32 s7, s23, s7
	v_mov_b32_e32 v2, s7
	v_add_co_u32_e32 v4, vcc, s6, v6
	v_addc_co_u32_e32 v5, vcc, 0, v2, vcc
	s_mov_b64 s[12:13], 0
	v_bfrev_b32_e32 v7, -2
	v_pk_mov_b32 v[2:3], 0, 0
	s_brev_b32 s14, -2
	v_mov_b32_e32 v8, v0
.LBB16_45:                              ; =>This Inner Loop Header: Depth=1
	global_load_dwordx2 v[10:11], v[4:5], off
	v_add_co_u32_e32 v4, vcc, 0x800, v4
	v_cmp_eq_u32_e64 s[6:7], s14, v7
	v_add_u32_e32 v9, 1, v8
	v_add_u32_e32 v8, 0x100, v8
	v_addc_co_u32_e32 v5, vcc, 0, v5, vcc
	v_cmp_le_i32_e32 vcc, s33, v8
	s_waitcnt vmcnt(0)
	v_cmp_lt_f64_e64 s[16:17], v[2:3], |v[10:11]|
	v_and_b32_e32 v12, 0x7fffffff, v11
	s_or_b64 s[6:7], s[16:17], s[6:7]
	v_cndmask_b32_e64 v3, v3, v12, s[6:7]
	v_cndmask_b32_e64 v2, v2, v10, s[6:7]
	s_or_b64 s[12:13], vcc, s[12:13]
	v_cndmask_b32_e64 v7, v7, v9, s[6:7]
	s_andn2_b64 exec, exec, s[12:13]
	s_cbranch_execnz .LBB16_45
; %bb.46:
	s_or_b64 exec, exec, s[12:13]
.LBB16_47:
	s_or_b64 exec, exec, s[8:9]
	s_cmp_lt_i32 s35, 3
	ds_write_b64 v6, v[2:3]
	ds_write_b32 v1, v7
	s_waitcnt lgkmcnt(0)
	s_barrier
	s_cbranch_scc1 .LBB16_82
; %bb.48:
	s_movk_i32 s6, 0x80
	v_cmp_gt_u32_e32 vcc, s6, v0
	s_and_saveexec_b64 s[8:9], vcc
	s_cbranch_execz .LBB16_54
; %bb.49:
	ds_read_b64 v[4:5], v6 offset:1024
	ds_read_b32 v8, v1 offset:512
	s_waitcnt lgkmcnt(1)
	v_cmp_lt_f64_e64 s[12:13], v[2:3], v[4:5]
	v_cmp_nlt_f64_e32 vcc, v[2:3], v[4:5]
	s_and_saveexec_b64 s[14:15], vcc
	s_cbranch_execz .LBB16_51
; %bb.50:
	v_cmp_eq_f64_e32 vcc, v[2:3], v[4:5]
	s_waitcnt lgkmcnt(0)
	v_cmp_gt_i32_e64 s[6:7], v7, v8
	s_and_b64 s[6:7], vcc, s[6:7]
	s_andn2_b64 s[12:13], s[12:13], exec
	s_and_b64 s[6:7], s[6:7], exec
	s_or_b64 s[12:13], s[12:13], s[6:7]
.LBB16_51:
	s_or_b64 exec, exec, s[14:15]
	s_and_saveexec_b64 s[6:7], s[12:13]
	s_cbranch_execz .LBB16_53
; %bb.52:
	s_waitcnt lgkmcnt(0)
	v_mov_b32_e32 v7, v8
	v_pk_mov_b32 v[2:3], v[4:5], v[4:5] op_sel:[0,1]
	ds_write_b64 v6, v[4:5]
	ds_write_b32 v1, v8
.LBB16_53:
	s_or_b64 exec, exec, s[6:7]
.LBB16_54:
	s_or_b64 exec, exec, s[8:9]
	v_cmp_gt_u32_e32 vcc, 64, v0
	s_waitcnt lgkmcnt(0)
	s_barrier
	s_and_saveexec_b64 s[12:13], vcc
	s_cbranch_execz .LBB16_81
; %bb.55:
	ds_read_b64 v[4:5], v6 offset:512
	ds_read_b32 v8, v1 offset:256
	s_waitcnt lgkmcnt(1)
	v_cmp_lt_f64_e64 s[8:9], v[2:3], v[4:5]
	v_cmp_nlt_f64_e32 vcc, v[2:3], v[4:5]
	s_and_saveexec_b64 s[14:15], vcc
	s_cbranch_execz .LBB16_57
; %bb.56:
	v_cmp_eq_f64_e32 vcc, v[2:3], v[4:5]
	s_waitcnt lgkmcnt(0)
	v_cmp_gt_i32_e64 s[6:7], v7, v8
	s_and_b64 s[6:7], vcc, s[6:7]
	s_andn2_b64 s[8:9], s[8:9], exec
	s_and_b64 s[6:7], s[6:7], exec
	s_or_b64 s[8:9], s[8:9], s[6:7]
.LBB16_57:
	s_or_b64 exec, exec, s[14:15]
	s_and_saveexec_b64 s[6:7], s[8:9]
	s_cbranch_execz .LBB16_59
; %bb.58:
	v_pk_mov_b32 v[2:3], v[4:5], v[4:5] op_sel:[0,1]
	s_waitcnt lgkmcnt(0)
	v_mov_b32_e32 v7, v8
	ds_write_b64 v6, v[4:5]
	ds_write_b32 v1, v8
.LBB16_59:
	s_or_b64 exec, exec, s[6:7]
	ds_read_b64 v[4:5], v6 offset:256
	s_waitcnt lgkmcnt(1)
	ds_read_b32 v8, v1 offset:128
	s_waitcnt lgkmcnt(1)
	v_cmp_lt_f64_e64 s[8:9], v[2:3], v[4:5]
	v_cmp_nlt_f64_e32 vcc, v[2:3], v[4:5]
	s_and_saveexec_b64 s[14:15], vcc
	s_cbranch_execz .LBB16_61
; %bb.60:
	v_cmp_eq_f64_e32 vcc, v[2:3], v[4:5]
	s_waitcnt lgkmcnt(0)
	v_cmp_gt_i32_e64 s[6:7], v7, v8
	s_and_b64 s[6:7], vcc, s[6:7]
	s_andn2_b64 s[8:9], s[8:9], exec
	s_and_b64 s[6:7], s[6:7], exec
	s_or_b64 s[8:9], s[8:9], s[6:7]
.LBB16_61:
	s_or_b64 exec, exec, s[14:15]
	s_and_saveexec_b64 s[6:7], s[8:9]
	s_cbranch_execz .LBB16_63
; %bb.62:
	v_pk_mov_b32 v[2:3], v[4:5], v[4:5] op_sel:[0,1]
	s_waitcnt lgkmcnt(0)
	v_mov_b32_e32 v7, v8
	ds_write_b64 v6, v[4:5]
	ds_write_b32 v1, v8
.LBB16_63:
	s_or_b64 exec, exec, s[6:7]
	ds_read_b64 v[4:5], v6 offset:128
	s_waitcnt lgkmcnt(1)
	;; [unrolled: 28-line block ×6, first 2 shown]
	ds_read_b32 v8, v1 offset:4
	s_waitcnt lgkmcnt(1)
	v_cmp_eq_f64_e64 s[6:7], v[2:3], v[4:5]
	s_waitcnt lgkmcnt(0)
	v_cmp_gt_i32_e64 s[8:9], v7, v8
	v_cmp_lt_f64_e32 vcc, v[2:3], v[4:5]
	s_and_b64 s[6:7], s[6:7], s[8:9]
	s_or_b64 s[6:7], vcc, s[6:7]
	s_and_b64 exec, exec, s[6:7]
	s_cbranch_execz .LBB16_81
; %bb.80:
	ds_write_b64 v6, v[4:5]
	ds_write_b32 v1, v8
.LBB16_81:
	s_or_b64 exec, exec, s[12:13]
.LBB16_82:
	v_mov_b32_e32 v1, 0
	s_waitcnt lgkmcnt(0)
	s_barrier
	ds_read_b64 v[2:3], v1
	s_load_dwordx4 s[12:15], s[4:5], 0x8
	v_mov_b32_e32 v1, s47
	s_cmpk_lg_i32 s34, 0xe9
	s_waitcnt lgkmcnt(0)
	v_mul_f64 v[2:3], v[2:3], s[46:47]
	v_cmp_gt_f64_e32 vcc, s[46:47], v[2:3]
	v_cndmask_b32_e32 v7, v3, v1, vcc
	v_mov_b32_e32 v1, s46
	v_cndmask_b32_e32 v6, v2, v1, vcc
	v_pk_mov_b32 v[4:5], s[14:15], s[14:15] op_sel:[0,1]
	v_pk_mov_b32 v[2:3], s[12:13], s[12:13] op_sel:[0,1]
	s_cbranch_scc0 .LBB16_85
; %bb.83:
	s_and_saveexec_b64 s[2:3], s[0:1]
	s_cbranch_execnz .LBB16_136
.LBB16_84:
	s_endpgm
.LBB16_85:
	s_lshl_b64 s[44:45], s[44:45], 3
	s_add_u32 s6, s36, s44
	s_addc_u32 s7, s37, s45
	s_lshl_b64 s[46:47], s[42:43], 3
	s_add_u32 s48, s6, s46
	s_addc_u32 s49, s7, s47
	;; [unrolled: 3-line block ×4, first 2 shown]
	s_lshl_b32 s16, s35, 1
	s_mul_i32 s6, s16, s40
	s_ashr_i32 s7, s6, 31
	s_lshl_b64 s[38:39], s[6:7], 3
	s_add_u32 s10, s26, s38
	s_addc_u32 s11, s27, s39
	s_lshl_b64 s[18:19], s[6:7], 2
	s_add_u32 s22, s28, s18
	s_addc_u32 s23, s29, s19
	v_pk_mov_b32 v[4:5], s[14:15], s[14:15] op_sel:[0,1]
	v_pk_mov_b32 v[2:3], s[12:13], s[12:13] op_sel:[0,1]
	s_and_saveexec_b64 s[8:9], s[0:1]
	s_cbranch_execz .LBB16_93
; %bb.86:
	v_mov_b32_e32 v1, 0
	global_load_dwordx2 v[4:5], v1, s[50:51]
	global_load_dwordx2 v[10:11], v1, s[48:49]
	s_cmp_gt_i32 s35, 1
	s_cselect_b64 s[12:13], -1, 0
	s_cmp_lt_i32 s35, 2
	s_waitcnt vmcnt(1)
	v_and_b32_e32 v9, 0x7fffffff, v5
	s_waitcnt vmcnt(0)
	v_add_f64 v[2:3], v[10:11], -|v[4:5]|
	v_add_f64 v[12:13], v[10:11], -v[2:3]
	v_cmp_le_f64_e32 vcc, v[12:13], v[6:7]
	v_cndmask_b32_e64 v8, 0, 1, vcc
	s_cbranch_scc1 .LBB16_89
; %bb.87:
	v_cmp_gt_f64_e64 s[6:7], v[12:13], -v[6:7]
	s_and_b64 vcc, vcc, s[6:7]
	s_add_u32 s6, s44, s46
	s_addc_u32 s7, s45, s47
	s_add_u32 s6, s6, s36
	s_addc_u32 s7, s7, s37
	v_xor_b32_e32 v5, 0x80000000, v7
	s_add_u32 s14, s6, 8
	v_cndmask_b32_e32 v13, v13, v5, vcc
	v_cndmask_b32_e32 v12, v12, v6, vcc
	s_addc_u32 s15, s7, 0
	s_mov_b64 s[52:53], s[42:43]
	s_mov_b32 s17, s33
.LBB16_88:                              ; =>This Inner Loop Header: Depth=1
	global_load_dwordx2 v[14:15], v1, s[14:15]
	global_load_dwordx2 v[16:17], v1, s[52:53]
	s_add_i32 s17, s17, -1
	s_waitcnt vmcnt(1)
	v_add_f64 v[14:15], v[14:15], -v[2:3]
	s_waitcnt vmcnt(0)
	v_div_scale_f64 v[18:19], s[6:7], v[12:13], v[12:13], v[16:17]
	v_rcp_f64_e32 v[22:23], v[18:19]
	v_div_scale_f64 v[20:21], vcc, v[16:17], v[12:13], v[16:17]
	v_fma_f64 v[24:25], -v[18:19], v[22:23], 1.0
	v_fmac_f64_e32 v[22:23], v[22:23], v[24:25]
	v_fma_f64 v[24:25], -v[18:19], v[22:23], 1.0
	v_fmac_f64_e32 v[22:23], v[22:23], v[24:25]
	v_mul_f64 v[24:25], v[20:21], v[22:23]
	v_fma_f64 v[18:19], -v[18:19], v[24:25], v[20:21]
	v_div_fmas_f64 v[18:19], v[18:19], v[22:23], v[24:25]
	v_div_fixup_f64 v[12:13], v[18:19], v[12:13], v[16:17]
	v_add_f64 v[12:13], v[14:15], -v[12:13]
	v_cmp_gt_f64_e64 s[54:55], v[12:13], -v[6:7]
	v_cmp_le_f64_e32 vcc, v[12:13], v[6:7]
	v_addc_co_u32_e64 v8, s[6:7], 0, v8, vcc
	s_and_b64 vcc, vcc, s[54:55]
	s_add_u32 s52, s52, 8
	s_addc_u32 s53, s53, 0
	s_add_u32 s14, s14, 8
	s_addc_u32 s15, s15, 0
	v_cndmask_b32_e32 v13, v13, v5, vcc
	s_cmp_lg_u32 s17, 0
	v_cndmask_b32_e32 v12, v12, v6, vcc
	s_cbranch_scc1 .LBB16_88
.LBB16_89:
	v_mov_b32_e32 v5, v9
	v_add_f64 v[4:5], v[10:11], v[4:5]
	v_add_f64 v[10:11], v[10:11], -v[4:5]
	v_cmp_le_f64_e64 s[6:7], v[10:11], v[6:7]
	s_andn2_b64 vcc, exec, s[12:13]
	v_cndmask_b32_e64 v9, 0, 1, s[6:7]
	s_cbranch_vccnz .LBB16_92
; %bb.90:
	v_cmp_gt_f64_e64 s[12:13], v[10:11], -v[6:7]
	s_and_b64 vcc, s[6:7], s[12:13]
	s_add_u32 s6, s44, s46
	s_addc_u32 s7, s45, s47
	s_add_u32 s6, s6, s36
	s_addc_u32 s7, s7, s37
	v_xor_b32_e32 v1, 0x80000000, v7
	s_add_u32 s12, s6, 8
	v_cndmask_b32_e32 v11, v11, v1, vcc
	v_cndmask_b32_e32 v10, v10, v6, vcc
	s_addc_u32 s13, s7, 0
	v_mov_b32_e32 v12, 0
	s_mov_b64 s[14:15], s[42:43]
	s_mov_b32 s17, s33
.LBB16_91:                              ; =>This Inner Loop Header: Depth=1
	global_load_dwordx2 v[14:15], v12, s[12:13]
	global_load_dwordx2 v[16:17], v12, s[14:15]
	s_add_i32 s17, s17, -1
	s_waitcnt vmcnt(1)
	v_add_f64 v[14:15], v[14:15], -v[4:5]
	s_waitcnt vmcnt(0)
	v_div_scale_f64 v[18:19], s[6:7], v[10:11], v[10:11], v[16:17]
	v_rcp_f64_e32 v[22:23], v[18:19]
	v_div_scale_f64 v[20:21], vcc, v[16:17], v[10:11], v[16:17]
	v_fma_f64 v[24:25], -v[18:19], v[22:23], 1.0
	v_fmac_f64_e32 v[22:23], v[22:23], v[24:25]
	v_fma_f64 v[24:25], -v[18:19], v[22:23], 1.0
	v_fmac_f64_e32 v[22:23], v[22:23], v[24:25]
	v_mul_f64 v[24:25], v[20:21], v[22:23]
	v_fma_f64 v[18:19], -v[18:19], v[24:25], v[20:21]
	v_div_fmas_f64 v[18:19], v[18:19], v[22:23], v[24:25]
	v_div_fixup_f64 v[10:11], v[18:19], v[10:11], v[16:17]
	v_add_f64 v[10:11], v[14:15], -v[10:11]
	v_cmp_gt_f64_e64 s[52:53], v[10:11], -v[6:7]
	v_cmp_le_f64_e32 vcc, v[10:11], v[6:7]
	v_addc_co_u32_e64 v9, s[6:7], 0, v9, vcc
	s_and_b64 vcc, vcc, s[52:53]
	s_add_u32 s14, s14, 8
	s_addc_u32 s15, s15, 0
	s_add_u32 s12, s12, 8
	s_addc_u32 s13, s13, 0
	v_cndmask_b32_e32 v11, v11, v1, vcc
	s_cmp_lg_u32 s17, 0
	v_cndmask_b32_e32 v10, v10, v6, vcc
	s_cbranch_scc1 .LBB16_91
.LBB16_92:
	v_mov_b32_e32 v1, 0
	global_store_dwordx4 v1, v[2:5], s[10:11]
	global_store_dwordx2 v1, v[8:9], s[22:23]
.LBB16_93:
	s_or_b64 exec, exec, s[8:9]
	v_add_u32_e32 v0, 1, v0
	v_cmp_gt_i32_e32 vcc, s33, v0
	s_and_saveexec_b64 s[12:13], vcc
	s_cbranch_execz .LBB16_103
; %bb.94:
	s_cmp_gt_i32 s35, 1
	s_cselect_b64 s[6:7], -1, 0
	s_add_u32 s8, s44, s46
	s_addc_u32 s9, s45, s47
	s_add_u32 s8, s8, s36
	s_addc_u32 s9, s9, s37
	s_add_u32 s14, s8, 8
	v_cndmask_b32_e64 v2, 0, 1, s[6:7]
	s_addc_u32 s15, s9, 0
	s_mov_b64 s[52:53], 0
	v_mov_b32_e32 v1, 0
	v_mov_b32_e32 v16, s49
	;; [unrolled: 1-line block ×3, first 2 shown]
	v_cmp_ne_u32_e64 s[6:7], 1, v2
	v_xor_b32_e32 v18, 0x80000000, v7
	s_branch .LBB16_96
.LBB16_95:                              ;   in Loop: Header=BB16_96 Depth=1
	v_lshlrev_b32_e32 v10, 1, v0
	v_mov_b32_e32 v11, v1
	v_lshlrev_b64 v[12:13], 3, v[10:11]
	v_mov_b32_e32 v14, s11
	v_add_co_u32_e32 v12, vcc, s10, v12
	v_addc_co_u32_e32 v13, vcc, v14, v13, vcc
	v_lshlrev_b64 v[10:11], 2, v[10:11]
	v_mov_b32_e32 v14, s23
	v_add_co_u32_e32 v10, vcc, s22, v10
	v_addc_co_u32_e32 v11, vcc, v14, v11, vcc
	v_add_u32_e32 v0, 0x100, v0
	v_cmp_le_i32_e32 vcc, s33, v0
	s_or_b64 s[52:53], vcc, s[52:53]
	global_store_dwordx4 v[12:13], v[2:5], off
	global_store_dwordx2 v[10:11], v[8:9], off
	s_andn2_b64 exec, exec, s[52:53]
	s_cbranch_execz .LBB16_102
.LBB16_96:                              ; =>This Loop Header: Depth=1
                                        ;     Child Loop BB16_98 Depth 2
                                        ;     Child Loop BB16_101 Depth 2
	v_lshlrev_b64 v[2:3], 3, v[0:1]
	v_add_co_u32_e32 v4, vcc, s48, v2
	v_addc_co_u32_e32 v5, vcc, v16, v3, vcc
	v_add_co_u32_e32 v2, vcc, s50, v2
	v_addc_co_u32_e32 v3, vcc, v17, v3, vcc
	global_load_dwordx4 v[12:15], v[2:3], off offset:-8
	s_nop 0
	global_load_dwordx2 v[4:5], v[4:5], off
	s_nop 0
	global_load_dwordx2 v[10:11], v1, s[48:49]
	s_and_b64 vcc, exec, s[6:7]
	s_waitcnt vmcnt(2)
	v_add_f64 v[12:13], |v[14:15]|, |v[12:13]|
	s_waitcnt vmcnt(1)
	v_add_f64 v[2:3], v[4:5], -v[12:13]
	s_waitcnt vmcnt(0)
	v_add_f64 v[14:15], v[10:11], -v[2:3]
	v_cmp_le_f64_e64 s[8:9], v[14:15], v[6:7]
	v_cndmask_b32_e64 v8, 0, 1, s[8:9]
	s_cbranch_vccnz .LBB16_99
; %bb.97:                               ;   in Loop: Header=BB16_96 Depth=1
	v_cmp_gt_f64_e64 s[54:55], v[14:15], -v[6:7]
	s_and_b64 vcc, s[8:9], s[54:55]
	v_cndmask_b32_e32 v15, v15, v18, vcc
	v_cndmask_b32_e32 v14, v14, v6, vcc
	s_mov_b64 s[54:55], s[14:15]
	s_mov_b64 s[56:57], s[42:43]
	s_mov_b32 s17, s33
.LBB16_98:                              ;   Parent Loop BB16_96 Depth=1
                                        ; =>  This Inner Loop Header: Depth=2
	global_load_dwordx2 v[20:21], v1, s[54:55]
	global_load_dwordx2 v[22:23], v1, s[56:57]
	s_add_i32 s17, s17, -1
	s_waitcnt vmcnt(1)
	v_add_f64 v[20:21], v[20:21], -v[2:3]
	s_waitcnt vmcnt(0)
	v_div_scale_f64 v[24:25], s[8:9], v[14:15], v[14:15], v[22:23]
	v_rcp_f64_e32 v[28:29], v[24:25]
	v_div_scale_f64 v[26:27], vcc, v[22:23], v[14:15], v[22:23]
	v_fma_f64 v[30:31], -v[24:25], v[28:29], 1.0
	v_fmac_f64_e32 v[28:29], v[28:29], v[30:31]
	v_fma_f64 v[30:31], -v[24:25], v[28:29], 1.0
	v_fmac_f64_e32 v[28:29], v[28:29], v[30:31]
	v_mul_f64 v[30:31], v[26:27], v[28:29]
	v_fma_f64 v[24:25], -v[24:25], v[30:31], v[26:27]
	v_div_fmas_f64 v[24:25], v[24:25], v[28:29], v[30:31]
	v_div_fixup_f64 v[14:15], v[24:25], v[14:15], v[22:23]
	v_add_f64 v[14:15], v[20:21], -v[14:15]
	v_cmp_gt_f64_e64 s[58:59], v[14:15], -v[6:7]
	v_cmp_le_f64_e32 vcc, v[14:15], v[6:7]
	v_addc_co_u32_e64 v8, s[8:9], 0, v8, vcc
	s_and_b64 vcc, vcc, s[58:59]
	s_add_u32 s56, s56, 8
	s_addc_u32 s57, s57, 0
	s_add_u32 s54, s54, 8
	s_addc_u32 s55, s55, 0
	v_cndmask_b32_e32 v15, v15, v18, vcc
	s_cmp_lg_u32 s17, 0
	v_cndmask_b32_e32 v14, v14, v6, vcc
	s_cbranch_scc1 .LBB16_98
.LBB16_99:                              ;   in Loop: Header=BB16_96 Depth=1
	v_add_f64 v[4:5], v[4:5], v[12:13]
	v_add_f64 v[10:11], v[10:11], -v[4:5]
	v_cmp_le_f64_e64 s[8:9], v[10:11], v[6:7]
	s_and_b64 vcc, exec, s[6:7]
	v_cndmask_b32_e64 v9, 0, 1, s[8:9]
	s_cbranch_vccnz .LBB16_95
; %bb.100:                              ;   in Loop: Header=BB16_96 Depth=1
	v_cmp_gt_f64_e64 s[54:55], v[10:11], -v[6:7]
	s_and_b64 vcc, s[8:9], s[54:55]
	v_cndmask_b32_e32 v11, v11, v18, vcc
	v_cndmask_b32_e32 v10, v10, v6, vcc
	s_mov_b64 s[54:55], s[14:15]
	s_mov_b64 s[56:57], s[42:43]
	s_mov_b32 s17, s33
.LBB16_101:                             ;   Parent Loop BB16_96 Depth=1
                                        ; =>  This Inner Loop Header: Depth=2
	global_load_dwordx2 v[12:13], v1, s[54:55]
	global_load_dwordx2 v[14:15], v1, s[56:57]
	s_add_i32 s17, s17, -1
	s_waitcnt vmcnt(1)
	v_add_f64 v[12:13], v[12:13], -v[4:5]
	s_waitcnt vmcnt(0)
	v_div_scale_f64 v[20:21], s[8:9], v[10:11], v[10:11], v[14:15]
	v_rcp_f64_e32 v[24:25], v[20:21]
	v_div_scale_f64 v[22:23], vcc, v[14:15], v[10:11], v[14:15]
	v_fma_f64 v[26:27], -v[20:21], v[24:25], 1.0
	v_fmac_f64_e32 v[24:25], v[24:25], v[26:27]
	v_fma_f64 v[26:27], -v[20:21], v[24:25], 1.0
	v_fmac_f64_e32 v[24:25], v[24:25], v[26:27]
	v_mul_f64 v[26:27], v[22:23], v[24:25]
	v_fma_f64 v[20:21], -v[20:21], v[26:27], v[22:23]
	v_div_fmas_f64 v[20:21], v[20:21], v[24:25], v[26:27]
	v_div_fixup_f64 v[10:11], v[20:21], v[10:11], v[14:15]
	v_add_f64 v[10:11], v[12:13], -v[10:11]
	v_cmp_gt_f64_e64 s[58:59], v[10:11], -v[6:7]
	v_cmp_le_f64_e32 vcc, v[10:11], v[6:7]
	v_addc_co_u32_e64 v9, s[8:9], 0, v9, vcc
	s_and_b64 vcc, vcc, s[58:59]
	s_add_u32 s56, s56, 8
	s_addc_u32 s57, s57, 0
	s_add_u32 s54, s54, 8
	s_addc_u32 s55, s55, 0
	v_cndmask_b32_e32 v11, v11, v18, vcc
	s_cmp_lg_u32 s17, 0
	v_cndmask_b32_e32 v10, v10, v6, vcc
	s_cbranch_scc1 .LBB16_101
	s_branch .LBB16_95
.LBB16_102:
	s_or_b64 exec, exec, s[52:53]
.LBB16_103:
	s_or_b64 exec, exec, s[12:13]
	s_and_saveexec_b64 s[6:7], s[2:3]
	s_cbranch_execz .LBB16_111
; %bb.104:
	s_ashr_i32 s3, s35, 31
	s_mov_b32 s2, s35
	s_lshl_b64 s[2:3], s[2:3], 3
	s_add_u32 s8, s48, s2
	s_addc_u32 s9, s49, s3
	s_add_u32 s2, s50, s2
	v_mov_b32_e32 v1, 0
	s_addc_u32 s3, s51, s3
	global_load_dwordx2 v[4:5], v1, s[2:3] offset:-16
	global_load_dwordx2 v[8:9], v1, s[8:9] offset:-8
	global_load_dwordx2 v[10:11], v1, s[48:49]
	s_cmp_gt_i32 s35, 1
	s_cselect_b64 s[8:9], -1, 0
	s_cmp_lt_i32 s35, 2
	s_waitcnt vmcnt(2)
	v_and_b32_e32 v14, 0x7fffffff, v5
	s_waitcnt vmcnt(1)
	v_add_f64 v[2:3], v[8:9], -|v[4:5]|
	s_waitcnt vmcnt(0)
	v_add_f64 v[12:13], v[10:11], -v[2:3]
	v_cmp_le_f64_e32 vcc, v[12:13], v[6:7]
	v_cndmask_b32_e64 v0, 0, 1, vcc
	s_cbranch_scc1 .LBB16_107
; %bb.105:
	v_cmp_gt_f64_e64 s[2:3], v[12:13], -v[6:7]
	s_and_b64 vcc, vcc, s[2:3]
	s_add_u32 s2, s44, s46
	s_addc_u32 s3, s45, s47
	s_add_u32 s2, s2, s36
	s_addc_u32 s3, s3, s37
	v_xor_b32_e32 v5, 0x80000000, v7
	s_add_u32 s12, s2, 8
	v_cndmask_b32_e32 v13, v13, v5, vcc
	v_cndmask_b32_e32 v12, v12, v6, vcc
	s_addc_u32 s13, s3, 0
	s_mov_b64 s[14:15], s[42:43]
	s_mov_b32 s17, s33
.LBB16_106:                             ; =>This Inner Loop Header: Depth=1
	global_load_dwordx2 v[16:17], v1, s[12:13]
	global_load_dwordx2 v[18:19], v1, s[14:15]
	s_add_i32 s17, s17, -1
	s_waitcnt vmcnt(1)
	v_add_f64 v[16:17], v[16:17], -v[2:3]
	s_waitcnt vmcnt(0)
	v_div_scale_f64 v[20:21], s[2:3], v[12:13], v[12:13], v[18:19]
	v_rcp_f64_e32 v[24:25], v[20:21]
	v_div_scale_f64 v[22:23], vcc, v[18:19], v[12:13], v[18:19]
	v_fma_f64 v[26:27], -v[20:21], v[24:25], 1.0
	v_fmac_f64_e32 v[24:25], v[24:25], v[26:27]
	v_fma_f64 v[26:27], -v[20:21], v[24:25], 1.0
	v_fmac_f64_e32 v[24:25], v[24:25], v[26:27]
	v_mul_f64 v[26:27], v[22:23], v[24:25]
	v_fma_f64 v[20:21], -v[20:21], v[26:27], v[22:23]
	v_div_fmas_f64 v[20:21], v[20:21], v[24:25], v[26:27]
	v_div_fixup_f64 v[12:13], v[20:21], v[12:13], v[18:19]
	v_add_f64 v[12:13], v[16:17], -v[12:13]
	v_cmp_gt_f64_e64 s[48:49], v[12:13], -v[6:7]
	v_cmp_le_f64_e32 vcc, v[12:13], v[6:7]
	v_addc_co_u32_e64 v0, s[2:3], 0, v0, vcc
	s_and_b64 vcc, vcc, s[48:49]
	s_add_u32 s14, s14, 8
	s_addc_u32 s15, s15, 0
	s_add_u32 s12, s12, 8
	s_addc_u32 s13, s13, 0
	v_cndmask_b32_e32 v13, v13, v5, vcc
	s_cmp_lg_u32 s17, 0
	v_cndmask_b32_e32 v12, v12, v6, vcc
	s_cbranch_scc1 .LBB16_106
.LBB16_107:
	v_mov_b32_e32 v5, v14
	v_add_f64 v[4:5], v[8:9], v[4:5]
	v_add_f64 v[8:9], v[10:11], -v[4:5]
	v_cmp_le_f64_e64 s[2:3], v[8:9], v[6:7]
	s_andn2_b64 vcc, exec, s[8:9]
	v_cndmask_b32_e64 v1, 0, 1, s[2:3]
	s_cbranch_vccnz .LBB16_110
; %bb.108:
	v_cmp_gt_f64_e64 s[8:9], v[8:9], -v[6:7]
	s_and_b64 vcc, s[2:3], s[8:9]
	s_add_u32 s2, s44, s46
	s_addc_u32 s3, s45, s47
	s_add_u32 s2, s2, s36
	s_addc_u32 s3, s3, s37
	v_xor_b32_e32 v10, 0x80000000, v7
	s_add_u32 s8, s2, 8
	v_cndmask_b32_e32 v9, v9, v10, vcc
	v_cndmask_b32_e32 v8, v8, v6, vcc
	s_addc_u32 s9, s3, 0
	v_mov_b32_e32 v11, 0
.LBB16_109:                             ; =>This Inner Loop Header: Depth=1
	global_load_dwordx2 v[12:13], v11, s[8:9]
	global_load_dwordx2 v[14:15], v11, s[42:43]
	s_add_i32 s33, s33, -1
	s_waitcnt vmcnt(1)
	v_add_f64 v[12:13], v[12:13], -v[4:5]
	s_waitcnt vmcnt(0)
	v_div_scale_f64 v[16:17], s[2:3], v[8:9], v[8:9], v[14:15]
	v_rcp_f64_e32 v[20:21], v[16:17]
	v_div_scale_f64 v[18:19], vcc, v[14:15], v[8:9], v[14:15]
	v_fma_f64 v[22:23], -v[16:17], v[20:21], 1.0
	v_fmac_f64_e32 v[20:21], v[20:21], v[22:23]
	v_fma_f64 v[22:23], -v[16:17], v[20:21], 1.0
	v_fmac_f64_e32 v[20:21], v[20:21], v[22:23]
	v_mul_f64 v[22:23], v[18:19], v[20:21]
	v_fma_f64 v[16:17], -v[16:17], v[22:23], v[18:19]
	v_div_fmas_f64 v[16:17], v[16:17], v[20:21], v[22:23]
	v_div_fixup_f64 v[8:9], v[16:17], v[8:9], v[14:15]
	v_add_f64 v[8:9], v[12:13], -v[8:9]
	v_cmp_gt_f64_e64 s[12:13], v[8:9], -v[6:7]
	v_cmp_le_f64_e32 vcc, v[8:9], v[6:7]
	v_addc_co_u32_e64 v1, s[2:3], 0, v1, vcc
	s_and_b64 vcc, vcc, s[12:13]
	s_add_u32 s42, s42, 8
	s_addc_u32 s43, s43, 0
	s_add_u32 s8, s8, 8
	s_addc_u32 s9, s9, 0
	v_cndmask_b32_e32 v9, v9, v10, vcc
	s_cmp_lg_u32 s33, 0
	v_cndmask_b32_e32 v8, v8, v6, vcc
	s_cbranch_scc1 .LBB16_109
.LBB16_110:
	s_ashr_i32 s17, s16, 31
	s_lshl_b64 s[2:3], s[16:17], 3
	s_add_u32 s2, s10, s2
	s_addc_u32 s3, s11, s3
	s_lshl_b64 s[8:9], s[16:17], 2
	v_mov_b32_e32 v8, 0
	s_add_u32 s8, s22, s8
	s_addc_u32 s9, s23, s9
	global_store_dwordx4 v8, v[2:5], s[2:3] offset:-16
	global_store_dwordx2 v8, v[0:1], s[8:9] offset:-8
.LBB16_111:
	s_or_b64 exec, exec, s[6:7]
	s_barrier
	s_and_saveexec_b64 s[6:7], s[0:1]
	s_cbranch_execz .LBB16_135
; %bb.112:
	s_cmp_gt_i32 s35, 0
	s_cselect_b64 s[12:13], -1, 0
	s_cmp_lt_i32 s35, 1
	s_mov_b32 s8, 1
	s_cbranch_scc1 .LBB16_120
; %bb.113:
	s_cmp_lg_u64 s[28:29], 0
	s_cselect_b64 s[2:3], -1, 0
	s_add_u32 s17, s10, -8
	s_addc_u32 s33, s11, -1
	s_add_u32 s42, s22, -4
	s_addc_u32 s43, s23, -1
	s_add_u32 s9, s38, s26
	s_addc_u32 s15, s39, s27
	s_add_u32 s14, s9, 8
	v_cndmask_b32_e64 v0, 0, 1, s[2:3]
	s_addc_u32 s15, s15, 0
	v_mov_b32_e32 v4, 0
	v_cmp_ne_u32_e64 s[2:3], 1, v0
	s_branch .LBB16_115
.LBB16_114:                             ;   in Loop: Header=BB16_115 Depth=1
	s_add_i32 s8, s8, 1
	s_add_u32 s14, s14, 8
	s_addc_u32 s15, s15, 0
	s_cmp_lg_u32 s8, s16
	s_cbranch_scc0 .LBB16_120
.LBB16_115:                             ; =>This Loop Header: Depth=1
                                        ;     Child Loop BB16_116 Depth 2
	s_ashr_i32 s9, s8, 31
	s_add_i32 s27, s8, -1
	s_lshl_b64 s[36:37], s[8:9], 3
	s_add_u32 s36, s17, s36
	s_addc_u32 s37, s33, s37
	global_load_dwordx2 v[0:1], v4, s[36:37]
	s_mov_b64 s[38:39], s[14:15]
	s_mov_b32 s44, s8
	s_mov_b32 s26, s27
	s_waitcnt vmcnt(0)
	v_pk_mov_b32 v[2:3], v[0:1], v[0:1] op_sel:[0,1]
.LBB16_116:                             ;   Parent Loop BB16_115 Depth=1
                                        ; =>  This Inner Loop Header: Depth=2
	global_load_dwordx2 v[8:9], v4, s[38:39]
	s_waitcnt vmcnt(0)
	v_cmp_lt_f64_e32 vcc, v[8:9], v[2:3]
	s_and_b64 s[46:47], vcc, exec
	s_cselect_b32 s26, s44, s26
	s_add_i32 s44, s44, 1
	s_add_u32 s38, s38, 8
	s_addc_u32 s39, s39, 0
	v_cndmask_b32_e32 v3, v3, v9, vcc
	s_cmp_ge_i32 s44, s16
	v_cndmask_b32_e32 v2, v2, v8, vcc
	s_cbranch_scc0 .LBB16_116
; %bb.117:                              ;   in Loop: Header=BB16_115 Depth=1
	s_cmp_lg_u32 s26, s27
	s_cbranch_scc0 .LBB16_114
; %bb.118:                              ;   in Loop: Header=BB16_115 Depth=1
	s_ashr_i32 s27, s26, 31
	s_lshl_b64 s[38:39], s[26:27], 3
	s_add_u32 s38, s10, s38
	s_addc_u32 s39, s11, s39
	s_and_b64 vcc, exec, s[2:3]
	global_store_dwordx2 v4, v[0:1], s[38:39]
	global_store_dwordx2 v4, v[2:3], s[36:37]
	s_cbranch_vccnz .LBB16_114
; %bb.119:                              ;   in Loop: Header=BB16_115 Depth=1
	s_lshl_b64 s[36:37], s[8:9], 2
	s_add_u32 s36, s42, s36
	s_addc_u32 s37, s43, s37
	s_lshl_b64 s[26:27], s[26:27], 2
	s_add_u32 s26, s22, s26
	s_addc_u32 s27, s23, s27
	global_load_dword v0, v4, s[36:37]
	global_load_dword v1, v4, s[26:27]
	s_waitcnt vmcnt(1)
	global_store_dword v4, v0, s[26:27]
	s_waitcnt vmcnt(1)
	global_store_dword v4, v1, s[36:37]
	s_branch .LBB16_114
.LBB16_120:
	s_ashr_i32 s17, s16, 31
	s_lshl_b64 s[2:3], s[16:17], 3
	v_mov_b32_e32 v0, 0
	s_add_u32 s14, s10, s2
	s_addc_u32 s15, s11, s3
	global_load_dwordx2 v[2:3], v0, s[10:11]
	global_load_dwordx2 v[4:5], v0, s[14:15] offset:-8
	s_load_dwordx2 s[8:9], s[4:5], 0x18
	v_cvt_f64_i32_e32 v[8:9], s35
	v_cndmask_b32_e64 v1, 0, 1, s[12:13]
	v_cmp_ne_u32_e64 s[2:3], 1, v1
	s_andn2_b64 vcc, exec, s[12:13]
	s_waitcnt vmcnt(0)
	v_cmp_lt_f64_e64 s[4:5], |v[2:3]|, |v[4:5]|
	v_cndmask_b32_e64 v11, v3, v5, s[4:5]
	v_cndmask_b32_e64 v10, v2, v4, s[4:5]
	v_mul_f64 v[10:11], |v[10:11]|, s[30:31]
	v_fma_f64 v[2:3], -v[10:11], v[8:9], v[2:3]
	v_fmac_f64_e32 v[4:5], v[10:11], v[8:9]
	v_add_f64 v[2:3], v[2:3], -v[6:7]
	v_add_f64 v[4:5], v[6:7], v[4:5]
	global_store_dwordx2 v0, v[2:3], s[10:11]
	global_store_dwordx2 v0, v[4:5], s[14:15] offset:-8
	s_cbranch_vccnz .LBB16_126
; %bb.121:
	s_max_i32 s13, s16, 2
	s_add_i32 s13, s13, -1
	s_add_u32 s4, s18, s28
	s_addc_u32 s5, s19, s29
	s_add_u32 s4, s4, 4
	s_addc_u32 s5, s5, 0
	s_mov_b32 s17, 0
	s_branch .LBB16_123
.LBB16_122:                             ;   in Loop: Header=BB16_123 Depth=1
	s_add_i32 s17, s17, 1
	s_add_u32 s4, s4, 4
	s_addc_u32 s5, s5, 0
	s_cmp_eq_u32 s13, s17
	s_cselect_b64 s[14:15], -1, 0
	s_mov_b32 s12, s13
	s_andn2_b64 vcc, exec, s[14:15]
	s_cbranch_vccz .LBB16_125
.LBB16_123:                             ; =>This Inner Loop Header: Depth=1
	global_load_dword v1, v0, s[4:5]
	s_mov_b64 s[14:15], -1
	s_waitcnt vmcnt(0) lgkmcnt(0)
	v_cmp_le_i32_e32 vcc, s8, v1
	s_cbranch_vccz .LBB16_122
; %bb.124:                              ;   in Loop: Header=BB16_123 Depth=1
                                        ; implicit-def: $sgpr4_sgpr5
	s_mov_b32 s12, s17
	s_andn2_b64 vcc, exec, s[14:15]
	s_cbranch_vccnz .LBB16_123
.LBB16_125:
	s_mov_b32 s13, 0
	s_branch .LBB16_127
.LBB16_126:
	s_mov_b64 s[12:13], 0
.LBB16_127:
	s_lshl_b64 s[4:5], s[12:13], 3
	s_add_u32 s4, s10, s4
	s_addc_u32 s5, s11, s5
	v_mov_b32_e32 v0, 0
	global_load_dwordx2 v[2:3], v0, s[4:5]
	s_and_b64 vcc, exec, s[2:3]
	s_mov_b32 s5, 1
	s_cbranch_vccnz .LBB16_133
; %bb.128:
	s_waitcnt lgkmcnt(0)
	s_max_i32 s8, s16, 2
	s_add_i32 s14, s8, -1
	s_add_u32 s2, s18, s28
	s_addc_u32 s3, s19, s29
	s_add_u32 s2, s2, 4
	s_addc_u32 s3, s3, 0
	s_branch .LBB16_130
.LBB16_129:                             ;   in Loop: Header=BB16_130 Depth=1
	s_mov_b32 s4, s5
                                        ; implicit-def: $sgpr2_sgpr3
	s_andn2_b64 vcc, exec, s[12:13]
	s_cbranch_vccz .LBB16_132
.LBB16_130:                             ; =>This Inner Loop Header: Depth=1
	global_load_dword v1, v0, s[2:3]
	s_mov_b64 s[12:13], -1
	s_waitcnt vmcnt(0)
	v_cmp_gt_i32_e32 vcc, s9, v1
	s_cbranch_vccz .LBB16_129
; %bb.131:                              ;   in Loop: Header=BB16_130 Depth=1
	s_add_i32 s5, s5, 1
	s_add_u32 s2, s2, 4
	s_addc_u32 s3, s3, 0
	s_cmp_eq_u32 s8, s5
	s_cselect_b64 s[12:13], -1, 0
	s_mov_b32 s4, s14
	s_andn2_b64 vcc, exec, s[12:13]
	s_cbranch_vccnz .LBB16_130
.LBB16_132:
	s_ashr_i32 s5, s4, 31
	s_branch .LBB16_134
.LBB16_133:
	s_mov_b64 s[4:5], 0
.LBB16_134:
	s_lshl_b64 s[2:3], s[4:5], 3
	s_add_u32 s2, s10, s2
	s_addc_u32 s3, s11, s3
	v_mov_b32_e32 v0, 0
	global_load_dwordx2 v[4:5], v0, s[2:3]
.LBB16_135:
	s_or_b64 exec, exec, s[6:7]
	s_and_saveexec_b64 s[2:3], s[0:1]
	s_cbranch_execz .LBB16_84
.LBB16_136:
	s_lshl_b64 s[0:1], s[40:41], 3
	s_add_u32 s0, s20, s0
	s_addc_u32 s1, s21, s1
	s_lshl_b32 s2, s40, 1
	s_ashr_i32 s3, s2, 31
	s_lshl_b64 s[2:3], s[2:3], 3
	s_add_u32 s2, s24, s2
	s_addc_u32 s3, s25, s3
	s_cmpk_eq_i32 s34, 0xe7
	v_mov_b32_e32 v0, 0
	s_cselect_b64 s[4:5], -1, 0
	s_waitcnt vmcnt(0)
	v_cndmask_b32_e64 v5, v5, 0, s[4:5]
	v_cndmask_b32_e64 v4, v4, 0, s[4:5]
	;; [unrolled: 1-line block ×4, first 2 shown]
	global_store_dwordx2 v0, v[6:7], s[0:1]
	global_store_dwordx4 v0, v[2:5], s[2:3]
	s_endpgm
	.section	.rodata,"a",@progbits
	.p2align	6, 0x0
	.amdhsa_kernel _ZN9rocsolver6v33100L22stebz_splitting_kernelIdPdEEv15rocblas_erange_iT_S4_iiT0_iiS5_iiPiPS4_lS6_lS6_S7_S7_S7_S7_S6_S4_S4_
		.amdhsa_group_segment_fixed_size 3072
		.amdhsa_private_segment_fixed_size 0
		.amdhsa_kernarg_size 168
		.amdhsa_user_sgpr_count 6
		.amdhsa_user_sgpr_private_segment_buffer 1
		.amdhsa_user_sgpr_dispatch_ptr 0
		.amdhsa_user_sgpr_queue_ptr 0
		.amdhsa_user_sgpr_kernarg_segment_ptr 1
		.amdhsa_user_sgpr_dispatch_id 0
		.amdhsa_user_sgpr_flat_scratch_init 0
		.amdhsa_user_sgpr_kernarg_preload_length 0
		.amdhsa_user_sgpr_kernarg_preload_offset 0
		.amdhsa_user_sgpr_private_segment_size 0
		.amdhsa_uses_dynamic_stack 0
		.amdhsa_system_sgpr_private_segment_wavefront_offset 0
		.amdhsa_system_sgpr_workgroup_id_x 1
		.amdhsa_system_sgpr_workgroup_id_y 1
		.amdhsa_system_sgpr_workgroup_id_z 0
		.amdhsa_system_sgpr_workgroup_info 0
		.amdhsa_system_vgpr_workitem_id 0
		.amdhsa_next_free_vgpr 44
		.amdhsa_next_free_sgpr 60
		.amdhsa_accum_offset 44
		.amdhsa_reserve_vcc 1
		.amdhsa_reserve_flat_scratch 0
		.amdhsa_float_round_mode_32 0
		.amdhsa_float_round_mode_16_64 0
		.amdhsa_float_denorm_mode_32 3
		.amdhsa_float_denorm_mode_16_64 3
		.amdhsa_dx10_clamp 1
		.amdhsa_ieee_mode 1
		.amdhsa_fp16_overflow 0
		.amdhsa_tg_split 0
		.amdhsa_exception_fp_ieee_invalid_op 0
		.amdhsa_exception_fp_denorm_src 0
		.amdhsa_exception_fp_ieee_div_zero 0
		.amdhsa_exception_fp_ieee_overflow 0
		.amdhsa_exception_fp_ieee_underflow 0
		.amdhsa_exception_fp_ieee_inexact 0
		.amdhsa_exception_int_div_zero 0
	.end_amdhsa_kernel
	.section	.text._ZN9rocsolver6v33100L22stebz_splitting_kernelIdPdEEv15rocblas_erange_iT_S4_iiT0_iiS5_iiPiPS4_lS6_lS6_S7_S7_S7_S7_S6_S4_S4_,"axG",@progbits,_ZN9rocsolver6v33100L22stebz_splitting_kernelIdPdEEv15rocblas_erange_iT_S4_iiT0_iiS5_iiPiPS4_lS6_lS6_S7_S7_S7_S7_S6_S4_S4_,comdat
.Lfunc_end16:
	.size	_ZN9rocsolver6v33100L22stebz_splitting_kernelIdPdEEv15rocblas_erange_iT_S4_iiT0_iiS5_iiPiPS4_lS6_lS6_S7_S7_S7_S7_S6_S4_S4_, .Lfunc_end16-_ZN9rocsolver6v33100L22stebz_splitting_kernelIdPdEEv15rocblas_erange_iT_S4_iiT0_iiS5_iiPiPS4_lS6_lS6_S7_S7_S7_S7_S6_S4_S4_
                                        ; -- End function
	.section	.AMDGPU.csdata,"",@progbits
; Kernel info:
; codeLenInByte = 6600
; NumSgprs: 64
; NumVgprs: 44
; NumAgprs: 0
; TotalNumVgprs: 44
; ScratchSize: 0
; MemoryBound: 0
; FloatMode: 240
; IeeeMode: 1
; LDSByteSize: 3072 bytes/workgroup (compile time only)
; SGPRBlocks: 7
; VGPRBlocks: 5
; NumSGPRsForWavesPerEU: 64
; NumVGPRsForWavesPerEU: 44
; AccumOffset: 44
; Occupancy: 8
; WaveLimiterHint : 0
; COMPUTE_PGM_RSRC2:SCRATCH_EN: 0
; COMPUTE_PGM_RSRC2:USER_SGPR: 6
; COMPUTE_PGM_RSRC2:TRAP_HANDLER: 0
; COMPUTE_PGM_RSRC2:TGID_X_EN: 1
; COMPUTE_PGM_RSRC2:TGID_Y_EN: 1
; COMPUTE_PGM_RSRC2:TGID_Z_EN: 0
; COMPUTE_PGM_RSRC2:TIDIG_COMP_CNT: 0
; COMPUTE_PGM_RSRC3_GFX90A:ACCUM_OFFSET: 10
; COMPUTE_PGM_RSRC3_GFX90A:TG_SPLIT: 0
	.section	.text._ZN9rocsolver6v33100L22stebz_bisection_kernelIdPdEEv15rocblas_erange_iT_T0_iiS5_iiPiPS4_lS6_lS6_lS6_S6_S7_S7_S7_S7_S6_S4_S4_,"axG",@progbits,_ZN9rocsolver6v33100L22stebz_bisection_kernelIdPdEEv15rocblas_erange_iT_T0_iiS5_iiPiPS4_lS6_lS6_lS6_S6_S7_S7_S7_S7_S6_S4_S4_,comdat
	.globl	_ZN9rocsolver6v33100L22stebz_bisection_kernelIdPdEEv15rocblas_erange_iT_T0_iiS5_iiPiPS4_lS6_lS6_lS6_S6_S7_S7_S7_S7_S6_S4_S4_ ; -- Begin function _ZN9rocsolver6v33100L22stebz_bisection_kernelIdPdEEv15rocblas_erange_iT_T0_iiS5_iiPiPS4_lS6_lS6_lS6_S6_S7_S7_S7_S7_S6_S4_S4_
	.p2align	8
	.type	_ZN9rocsolver6v33100L22stebz_bisection_kernelIdPdEEv15rocblas_erange_iT_T0_iiS5_iiPiPS4_lS6_lS6_lS6_S6_S7_S7_S7_S7_S6_S4_S4_,@function
_ZN9rocsolver6v33100L22stebz_bisection_kernelIdPdEEv15rocblas_erange_iT_T0_iiS5_iiPiPS4_lS6_lS6_lS6_S6_S7_S7_S7_S7_S6_S4_S4_: ; @_ZN9rocsolver6v33100L22stebz_bisection_kernelIdPdEEv15rocblas_erange_iT_T0_iiS5_iiPiPS4_lS6_lS6_lS6_S6_S7_S7_S7_S7_S6_S4_S4_
; %bb.0:
	s_load_dwordx16 s[8:23], s[4:5], 0x30
	s_mov_b32 s0, s7
	s_ashr_i32 s1, s7, 31
	s_lshl_b64 s[2:3], s[0:1], 2
	s_waitcnt lgkmcnt(0)
	s_add_u32 s8, s8, s2
	s_addc_u32 s9, s9, s3
	s_load_dword s33, s[8:9], 0x0
	s_waitcnt lgkmcnt(0)
	s_cmp_ge_i32 s6, s33
	s_cbranch_scc1 .LBB17_102
; %bb.1:
	s_load_dwordx8 s[24:31], s[4:5], 0x8
	s_load_dwordx2 s[60:61], s[4:5], 0x0
	s_load_dwordx2 s[8:9], s[4:5], 0x28
	s_load_dwordx8 s[36:43], s[4:5], 0x90
	s_load_dwordx8 s[44:51], s[4:5], 0x70
	s_waitcnt lgkmcnt(0)
	s_mul_hi_i32 s35, s29, s0
	s_mul_i32 s34, s29, s0
	s_ashr_i32 s5, s28, 31
	s_lshl_b64 s[52:53], s[34:35], 3
	s_mov_b32 s4, s28
	s_add_u32 s7, s26, s52
	s_addc_u32 s28, s27, s53
	s_lshl_b64 s[54:55], s[4:5], 3
	s_add_u32 s72, s7, s54
	s_addc_u32 s73, s28, s55
	s_mul_hi_i32 s29, s9, s0
	s_mul_i32 s28, s9, s0
	s_ashr_i32 s5, s8, 31
	s_lshl_b64 s[56:57], s[28:29], 3
	s_mov_b32 s4, s8
	s_add_u32 s7, s30, s56
	s_addc_u32 s8, s31, s57
	s_lshl_b64 s[58:59], s[4:5], 3
	s_add_u32 s74, s7, s58
	s_mul_i32 s4, s0, s13
	s_mul_hi_u32 s5, s0, s12
	s_addc_u32 s75, s8, s59
	s_add_i32 s4, s5, s4
	s_mul_i32 s5, s1, s12
	s_add_i32 s5, s4, s5
	s_mul_i32 s4, s0, s12
	s_lshl_b64 s[4:5], s[4:5], 3
	s_add_u32 s76, s10, s4
	s_addc_u32 s77, s11, s5
	s_mul_i32 s4, s0, s17
	s_mul_hi_u32 s5, s0, s16
	s_add_i32 s4, s5, s4
	s_mul_i32 s5, s1, s16
	s_add_i32 s5, s4, s5
	s_mul_i32 s4, s0, s16
	s_lshl_b64 s[4:5], s[4:5], 2
	s_add_u32 s78, s14, s4
	s_addc_u32 s79, s15, s5
	s_mul_i32 s4, s0, s21
	s_mul_hi_u32 s5, s0, s20
	s_add_i32 s4, s5, s4
	s_mul_i32 s5, s1, s20
	s_add_i32 s5, s4, s5
	s_mul_i32 s4, s0, s20
	s_lshl_b64 s[4:5], s[4:5], 2
	s_add_u32 s80, s18, s4
	s_addc_u32 s81, s19, s5
	s_add_i32 s4, s61, -1
	s_mul_i32 s4, s4, s0
	s_ashr_i32 s5, s4, 31
	s_lshl_b64 s[4:5], s[4:5], 3
	s_add_u32 s82, s48, s4
	s_addc_u32 s83, s49, s5
	s_lshl_b32 s4, s0, 1
	s_ashr_i32 s5, s4, 31
	s_lshl_b64 s[4:5], s[4:5], 3
	s_add_u32 s16, s50, s4
	s_addc_u32 s17, s51, s5
	s_lshl_b64 s[4:5], s[0:1], 3
	s_add_u32 s4, s46, s4
	s_addc_u32 s5, s47, s5
	s_add_u32 s2, s22, s2
	s_addc_u32 s3, s23, s3
                                        ; implicit-def: $vgpr63 : SGPR spill to VGPR lane
	s_mul_i32 s0, s0, s61
	v_writelane_b32 v63, s2, 0
	v_writelane_b32 v63, s3, 1
	s_lshl_b32 s2, s0, 2
	s_ashr_i32 s3, s2, 31
	s_load_dwordx2 s[18:19], s[4:5], 0x0
	s_lshl_b64 s[4:5], s[2:3], 3
	s_add_u32 s84, s36, s4
	s_addc_u32 s85, s37, s5
	s_lshl_b64 s[2:3], s[2:3], 2
	s_add_u32 s86, s38, s2
	s_addc_u32 s87, s39, s3
	s_ashr_i32 s1, s0, 31
	s_lshl_b64 s[0:1], s[0:1], 2
	s_add_u32 s88, s44, s0
	s_mov_b32 s8, 0x55555555
	s_addc_u32 s89, s45, s1
	s_waitcnt lgkmcnt(0)
	v_frexp_mant_f64_e32 v[2:3], s[18:19]
	s_mov_b32 s9, 0x3fe55555
	s_cmpk_lg_i32 s60, 0xe7
	v_cmp_gt_f64_e32 vcc, s[8:9], v[2:3]
	s_cselect_b64 s[22:23], -1, 0
	s_and_b64 s[8:9], vcc, exec
	s_mov_b32 s28, 0
	s_cselect_b32 s29, 2.0, 0x3ff00000
	v_mul_f64 v[2:3], v[2:3], s[28:29]
	v_add_f64 v[4:5], v[2:3], 1.0
	v_rcp_f64_e32 v[6:7], v[4:5]
	v_add_f64 v[10:11], v[4:5], -1.0
	v_add_f64 v[8:9], v[2:3], -1.0
	v_add_f64 v[2:3], v[2:3], -v[10:11]
	v_fma_f64 v[10:11], -v[4:5], v[6:7], 1.0
	v_fmac_f64_e32 v[6:7], v[10:11], v[6:7]
	v_fma_f64 v[10:11], -v[4:5], v[6:7], 1.0
	v_fmac_f64_e32 v[6:7], v[10:11], v[6:7]
	v_mul_f64 v[10:11], v[8:9], v[6:7]
	v_mul_f64 v[12:13], v[4:5], v[10:11]
	v_fma_f64 v[4:5], v[10:11], v[4:5], -v[12:13]
	v_fmac_f64_e32 v[4:5], v[10:11], v[2:3]
	v_add_f64 v[2:3], v[12:13], v[4:5]
	v_add_f64 v[14:15], v[8:9], -v[2:3]
	v_add_f64 v[12:13], v[2:3], -v[12:13]
	;; [unrolled: 1-line block ×5, first 2 shown]
	v_add_f64 v[2:3], v[4:5], v[2:3]
	v_add_f64 v[2:3], v[14:15], v[2:3]
	v_mul_f64 v[2:3], v[6:7], v[2:3]
	v_add_f64 v[4:5], v[10:11], v[2:3]
	v_add_f64 v[6:7], v[4:5], -v[10:11]
	v_mov_b32_e32 v14, 0x6b47b09a
	v_mov_b32_e32 v15, 0x3fc38538
	s_mov_b32 s38, 0xbf559e2b
	v_add_f64 v[2:3], v[2:3], -v[6:7]
	v_mul_f64 v[6:7], v[4:5], v[4:5]
	s_mov_b32 s39, 0x3fc3ab76
	v_pk_mov_b32 v[8:9], v[14:15], v[14:15] op_sel:[0,1]
	v_mov_b32_e32 v16, 0xd7f4df2e
	v_mov_b32_e32 v17, 0x3fc7474d
	v_fmac_f64_e32 v[8:9], s[38:39], v[6:7]
	v_pk_mov_b32 v[10:11], v[16:17], v[16:17] op_sel:[0,1]
	v_mov_b32_e32 v18, 0x16291751
	v_mov_b32_e32 v19, 0x3fcc71c0
	v_fmac_f64_e32 v[10:11], v[6:7], v[8:9]
	;; [unrolled: 4-line block ×5, first 2 shown]
	v_pk_mov_b32 v[10:11], v[24:25], v[24:25] op_sel:[0,1]
	v_fmac_f64_e32 v[10:11], v[6:7], v[8:9]
	v_ldexp_f64 v[8:9], v[4:5], 1
	v_mul_f64 v[4:5], v[4:5], v[6:7]
	v_mul_f64 v[4:5], v[4:5], v[10:11]
	v_add_f64 v[6:7], v[8:9], v[4:5]
	v_add_f64 v[8:9], v[6:7], -v[8:9]
	v_ldexp_f64 v[2:3], v[2:3], 1
	v_add_f64 v[4:5], v[4:5], -v[8:9]
	v_add_f64 v[2:3], v[2:3], v[4:5]
	v_frexp_exp_i32_f64_e32 v1, s[18:19]
	v_add_f64 v[4:5], v[6:7], v[2:3]
	v_subbrev_co_u32_e64 v1, s[8:9], 0, v1, vcc
	v_add_f64 v[6:7], v[4:5], -v[6:7]
	s_mov_b32 s42, 0xfefa39ef
	v_add_f64 v[2:3], v[2:3], -v[6:7]
	v_cvt_f64_i32_e32 v[6:7], v1
	s_mov_b32 s43, 0x3fe62e42
	v_mul_f64 v[8:9], v[6:7], s[42:43]
	s_mov_b32 s44, 0x3b39803f
	v_fma_f64 v[10:11], v[6:7], s[42:43], -v[8:9]
	s_mov_b32 s45, 0x3c7abc9e
	v_fmac_f64_e32 v[10:11], s[44:45], v[6:7]
	v_add_f64 v[6:7], v[8:9], v[10:11]
	v_add_f64 v[8:9], v[6:7], -v[8:9]
	v_add_f64 v[8:9], v[10:11], -v[8:9]
	v_add_f64 v[10:11], v[6:7], v[4:5]
	v_add_f64 v[12:13], v[10:11], -v[6:7]
	v_add_f64 v[26:27], v[10:11], -v[12:13]
	s_add_u32 s90, s80, -4
	v_add_f64 v[6:7], v[6:7], -v[26:27]
	v_add_f64 v[4:5], v[4:5], -v[12:13]
	s_addc_u32 s91, s81, -1
	v_add_f64 v[4:5], v[4:5], v[6:7]
	v_add_f64 v[6:7], v[8:9], v[2:3]
	s_add_u32 s7, s52, s54
	v_add_f64 v[12:13], v[6:7], -v[8:9]
	s_addc_u32 s12, s53, s55
	v_add_f64 v[26:27], v[6:7], -v[12:13]
	v_add_f64 v[4:5], v[6:7], v[4:5]
	s_add_u32 s7, s7, s26
	v_add_f64 v[8:9], v[8:9], -v[26:27]
	v_add_f64 v[2:3], v[2:3], -v[12:13]
	v_add_f64 v[6:7], v[10:11], v[4:5]
	s_addc_u32 s12, s12, s27
	v_add_f64 v[2:3], v[2:3], v[8:9]
	v_add_f64 v[8:9], v[6:7], -v[10:11]
	s_add_u32 s92, s7, 8
	v_add_f64 v[4:5], v[4:5], -v[8:9]
	s_addc_u32 s93, s12, 0
	v_add_f64 v[2:3], v[2:3], v[4:5]
	v_mov_b32_e32 v1, 0x204
	s_add_u32 s7, s56, s58
	v_add_f64 v[2:3], v[6:7], v[2:3]
	v_mov_b32_e32 v4, s18
	v_cmp_class_f64_e32 vcc, s[18:19], v1
	v_mov_b32_e32 v1, s19
	s_addc_u32 s12, s57, s59
	v_cndmask_b32_e32 v2, v2, v4, vcc
	v_cndmask_b32_e32 v3, v3, v1, vcc
	v_mov_b32_e32 v1, 0x7ff80000
	v_cmp_nlt_f64_e64 vcc, s[18:19], 0
	s_add_u32 s7, s7, s30
	v_cndmask_b32_e32 v3, v1, v3, vcc
	v_cmp_nle_f64_e64 vcc, s[18:19], 0
	s_addc_u32 s12, s12, s31
	v_cndmask_b32_e32 v26, 0, v2, vcc
	v_mov_b32_e32 v32, 0xfff00000
	v_cmp_neq_f64_e64 vcc, s[18:19], 0
	v_mov_b32_e32 v33, 0x1800
	v_mov_b32_e32 v2, 0x1000
	v_and_b32_e32 v37, 0x7c, v0
	s_add_u32 s94, s7, 8
	v_cmp_lt_f64_e64 s[0:1], s[24:25], 0
	s_mov_b32 s37, s61
	v_cmp_eq_u32_e64 s[2:3], 0, v0
	v_cmp_ne_u32_e64 s[4:5], 0, v0
	s_movk_i32 s34, 0x204
	v_cndmask_b32_e32 v27, v32, v3, vcc
	v_lshl_or_b32 v34, v0, 2, v33
	v_lshlrev_b32_e32 v35, 5, v0
	v_lshl_or_b32 v36, v0, 4, v2
	v_add_f64 v[28:29], s[40:41], s[40:41]
	v_cmp_lt_u32_e64 s[8:9], 3, v0
	v_cmp_ne_u32_e64 s[10:11], v0, v37
	s_addc_u32 s95, s12, 0
	v_mov_b32_e32 v38, 0
	v_mov_b32_e32 v39, 1
                                        ; implicit-def: $vgpr40
                                        ; implicit-def: $vgpr41
                                        ; implicit-def: $vgpr42
                                        ; implicit-def: $vgpr43
                                        ; implicit-def: $vgpr44
	s_branch .LBB17_4
.LBB17_2:                               ;   in Loop: Header=BB17_4 Depth=1
	s_or_b64 exec, exec, s[12:13]
	v_mov_b32_e32 v5, v44
	v_mov_b32_e32 v47, v43
	;; [unrolled: 1-line block ×5, first 2 shown]
.LBB17_3:                               ;   in Loop: Header=BB17_4 Depth=1
	s_add_i32 s6, s6, 64
	s_cmp_lt_i32 s6, s33
	v_mov_b32_e32 v40, v46
	v_mov_b32_e32 v41, v48
	;; [unrolled: 1-line block ×5, first 2 shown]
	s_barrier
	s_cbranch_scc0 .LBB17_102
.LBB17_4:                               ; =>This Loop Header: Depth=1
                                        ;     Child Loop BB17_9 Depth 2
                                        ;     Child Loop BB17_22 Depth 2
	;; [unrolled: 1-line block ×4, first 2 shown]
                                        ;       Child Loop BB17_42 Depth 3
                                        ;         Child Loop BB17_45 Depth 4
                                        ;         Child Loop BB17_59 Depth 4
	;; [unrolled: 1-line block ×3, first 2 shown]
                                        ;     Child Loop BB17_84 Depth 2
                                        ;       Child Loop BB17_86 Depth 3
	s_ashr_i32 s7, s6, 31
	s_cmp_eq_u32 s6, 0
	s_mov_b32 s26, 0
	s_cbranch_scc1 .LBB17_6
; %bb.5:                                ;   in Loop: Header=BB17_4 Depth=1
	s_lshl_b64 s[12:13], s[6:7], 2
	s_add_u32 s12, s90, s12
	s_addc_u32 s13, s91, s13
	global_load_dword v2, v38, s[12:13]
	s_waitcnt vmcnt(0)
	v_readfirstlane_b32 s26, v2
.LBB17_6:                               ;   in Loop: Header=BB17_4 Depth=1
	s_lshl_b64 s[30:31], s[6:7], 2
	s_add_u32 s12, s80, s30
	s_addc_u32 s13, s81, s31
	global_load_dword v2, v38, s[12:13]
	s_waitcnt vmcnt(0)
	v_readfirstlane_b32 s7, v2
	s_sub_i32 s7, s7, s26
	s_cmp_lg_u32 s7, 1
	s_cbranch_scc0 .LBB17_16
; %bb.7:                                ;   in Loop: Header=BB17_4 Depth=1
	s_ashr_i32 s27, s26, 31
	s_lshl_b64 s[50:51], s[26:27], 3
	s_add_u32 s46, s72, s50
	s_addc_u32 s47, s73, s51
	s_add_u32 s12, s74, s50
	s_addc_u32 s13, s75, s51
	global_load_dwordx2 v[4:5], v38, s[12:13]
	global_load_dwordx2 v[10:11], v38, s[46:47]
	s_cmp_lt_i32 s7, 3
	s_waitcnt vmcnt(1)
	v_and_b32_e32 v7, 0x7fffffff, v5
	v_mov_b32_e32 v6, v4
	s_waitcnt vmcnt(0)
	v_add_f64 v[2:3], v[10:11], -|v[4:5]|
	v_add_f64 v[4:5], v[10:11], |v[4:5]|
	s_cbranch_scc1 .LBB17_10
; %bb.8:                                ;   in Loop: Header=BB17_4 Depth=1
	s_add_i32 s27, s7, -2
	s_add_u32 s14, s92, s50
	s_addc_u32 s15, s93, s51
	s_add_u32 s48, s94, s50
	s_addc_u32 s49, s95, s51
.LBB17_9:                               ;   Parent Loop BB17_4 Depth=1
                                        ; =>  This Inner Loop Header: Depth=2
	global_load_dwordx2 v[8:9], v38, s[14:15]
	global_load_dwordx2 v[12:13], v38, s[48:49]
	s_add_i32 s27, s27, -1
	v_pk_mov_b32 v[30:31], v[6:7], v[6:7] op_sel:[0,1]
	s_add_u32 s14, s14, 8
	s_addc_u32 s15, s15, 0
	s_add_u32 s48, s48, 8
	s_addc_u32 s49, s49, 0
	s_cmp_lg_u32 s27, 0
	s_waitcnt vmcnt(1)
	v_add_f64 v[46:47], v[8:9], -v[30:31]
	v_add_f64 v[8:9], v[30:31], v[8:9]
	s_waitcnt vmcnt(0)
	v_add_f64 v[30:31], v[46:47], -|v[12:13]|
	v_add_f64 v[8:9], v[8:9], |v[12:13]|
	v_cmp_lt_f64_e32 vcc, v[30:31], v[2:3]
	v_cmp_lt_f64_e64 s[12:13], v[4:5], v[8:9]
	v_and_b32_e32 v7, 0x7fffffff, v13
	v_mov_b32_e32 v6, v12
	v_cndmask_b32_e32 v3, v3, v31, vcc
	v_cndmask_b32_e64 v5, v5, v9, s[12:13]
	v_cndmask_b32_e32 v2, v2, v30, vcc
	v_cndmask_b32_e64 v4, v4, v8, s[12:13]
	s_cbranch_scc1 .LBB17_9
.LBB17_10:                              ;   in Loop: Header=BB17_4 Depth=1
	s_add_i32 s48, s7, -1
	s_ashr_i32 s49, s48, 31
	s_lshl_b64 s[12:13], s[48:49], 3
	s_add_u32 s12, s46, s12
	s_addc_u32 s13, s47, s13
	global_load_dwordx2 v[8:9], v38, s[12:13]
	v_cvt_f64_i32_e32 v[12:13], s7
	s_andn2_b64 vcc, exec, s[22:23]
	s_waitcnt vmcnt(0)
	v_add_f64 v[30:31], v[8:9], -v[6:7]
	v_add_f64 v[6:7], v[6:7], v[8:9]
	v_cmp_lt_f64_e64 s[12:13], v[30:31], v[2:3]
	v_cmp_lt_f64_e64 s[14:15], v[4:5], v[6:7]
	v_cndmask_b32_e64 v9, v3, v31, s[12:13]
	v_cndmask_b32_e64 v5, v5, v7, s[14:15]
	;; [unrolled: 1-line block ×4, first 2 shown]
	v_cmp_lt_f64_e64 s[12:13], |v[8:9]|, |v[4:5]|
	v_cndmask_b32_e64 v3, v9, v5, s[12:13]
	v_cndmask_b32_e64 v2, v8, v4, s[12:13]
	v_mul_f64 v[2:3], |v[2:3]|, s[40:41]
	v_fma_f64 v[6:7], -v[2:3], v[12:13], v[8:9]
	v_fmac_f64_e32 v[4:5], v[2:3], v[12:13]
	v_add_f64 v[6:7], v[6:7], -s[18:19]
	v_add_f64 v[8:9], s[18:19], v[4:5]
	s_cbranch_vccnz .LBB17_12
; %bb.11:                               ;   in Loop: Header=BB17_4 Depth=1
	global_load_dwordx4 v[46:49], v38, s[16:17]
	s_waitcnt vmcnt(0)
	v_cmp_lt_f64_e32 vcc, v[6:7], v[46:47]
	v_cmp_lt_f64_e64 s[12:13], v[48:49], v[8:9]
	v_cndmask_b32_e32 v7, v7, v47, vcc
	v_cndmask_b32_e64 v9, v9, v49, s[12:13]
	v_cndmask_b32_e32 v6, v6, v46, vcc
	v_cndmask_b32_e64 v8, v8, v48, s[12:13]
.LBB17_12:                              ;   in Loop: Header=BB17_4 Depth=1
	v_cmp_nlt_f64_e32 vcc, v[6:7], v[8:9]
	s_cbranch_vccz .LBB17_17
; %bb.13:                               ;   in Loop: Header=BB17_4 Depth=1
	s_and_saveexec_b64 s[12:13], s[2:3]
	s_cbranch_execz .LBB17_15
; %bb.14:                               ;   in Loop: Header=BB17_4 Depth=1
	s_add_u32 s14, s88, s30
	s_addc_u32 s15, s89, s31
	ds_write_b16 v38, v38 offset:6660
	global_store_dword v38, v38, s[14:15]
.LBB17_15:                              ;   in Loop: Header=BB17_4 Depth=1
	s_or_b64 exec, exec, s[12:13]
	s_mov_b64 s[12:13], 0
	s_branch .LBB17_18
.LBB17_16:                              ;   in Loop: Header=BB17_4 Depth=1
                                        ; implicit-def: $vgpr46
                                        ; implicit-def: $vgpr48
                                        ; implicit-def: $vgpr45
                                        ; implicit-def: $vgpr47
                                        ; implicit-def: $vgpr5
	s_cbranch_execz .LBB17_3
	s_branch .LBB17_93
.LBB17_17:                              ;   in Loop: Header=BB17_4 Depth=1
	s_mov_b64 s[12:13], -1
.LBB17_18:                              ;   in Loop: Header=BB17_4 Depth=1
	s_andn2_b64 vcc, exec, s[12:13]
	v_mov_b32_e32 v5, v44
	v_mov_b32_e32 v47, v43
	;; [unrolled: 1-line block ×4, first 2 shown]
	s_cbranch_vccnz .LBB17_32
; %bb.19:                               ;   in Loop: Header=BB17_4 Depth=1
	v_add_f64 v[4:5], v[8:9], -v[6:7]
	v_add_f64 v[4:5], s[18:19], v[4:5]
	s_mov_b32 s12, 0x55555555
	v_frexp_mant_f64_e32 v[12:13], v[4:5]
	s_mov_b32 s13, 0x3fe55555
	v_cmp_gt_f64_e32 vcc, s[12:13], v[12:13]
	s_and_b64 s[12:13], vcc, exec
	s_cselect_b32 s29, 2.0, 0x3ff00000
	v_frexp_exp_i32_f64_e32 v30, v[4:5]
	v_mul_f64 v[12:13], v[12:13], s[28:29]
	v_subbrev_co_u32_e64 v45, s[12:13], 0, v30, vcc
	v_add_f64 v[30:31], v[12:13], 1.0
	v_rcp_f64_e32 v[46:47], v[30:31]
	v_add_f64 v[50:51], v[30:31], -1.0
	v_add_f64 v[48:49], v[12:13], -1.0
	v_add_f64 v[12:13], v[12:13], -v[50:51]
	v_fma_f64 v[50:51], -v[30:31], v[46:47], 1.0
	v_fmac_f64_e32 v[46:47], v[50:51], v[46:47]
	v_fma_f64 v[50:51], -v[30:31], v[46:47], 1.0
	v_fmac_f64_e32 v[46:47], v[50:51], v[46:47]
	v_mul_f64 v[50:51], v[48:49], v[46:47]
	v_mul_f64 v[52:53], v[30:31], v[50:51]
	v_fma_f64 v[30:31], v[50:51], v[30:31], -v[52:53]
	v_fmac_f64_e32 v[30:31], v[50:51], v[12:13]
	v_add_f64 v[12:13], v[52:53], v[30:31]
	v_add_f64 v[54:55], v[48:49], -v[12:13]
	v_add_f64 v[52:53], v[12:13], -v[52:53]
	;; [unrolled: 1-line block ×5, first 2 shown]
	v_add_f64 v[12:13], v[30:31], v[12:13]
	v_add_f64 v[12:13], v[54:55], v[12:13]
	v_mul_f64 v[12:13], v[46:47], v[12:13]
	v_add_f64 v[30:31], v[50:51], v[12:13]
	v_add_f64 v[46:47], v[30:31], -v[50:51]
	v_add_f64 v[12:13], v[12:13], -v[46:47]
	v_mul_f64 v[46:47], v[30:31], v[30:31]
	v_pk_mov_b32 v[48:49], v[14:15], v[14:15] op_sel:[0,1]
	v_fmac_f64_e32 v[48:49], s[38:39], v[46:47]
	v_pk_mov_b32 v[50:51], v[16:17], v[16:17] op_sel:[0,1]
	v_fmac_f64_e32 v[50:51], v[46:47], v[48:49]
	;; [unrolled: 2-line block ×6, first 2 shown]
	v_ldexp_f64 v[48:49], v[30:31], 1
	v_mul_f64 v[30:31], v[30:31], v[46:47]
	v_mul_f64 v[30:31], v[30:31], v[50:51]
	v_add_f64 v[46:47], v[48:49], v[30:31]
	v_add_f64 v[48:49], v[46:47], -v[48:49]
	v_ldexp_f64 v[12:13], v[12:13], 1
	v_add_f64 v[30:31], v[30:31], -v[48:49]
	v_add_f64 v[12:13], v[12:13], v[30:31]
	v_add_f64 v[30:31], v[46:47], v[12:13]
	v_add_f64 v[46:47], v[30:31], -v[46:47]
	v_add_f64 v[12:13], v[12:13], -v[46:47]
	v_cvt_f64_i32_e32 v[46:47], v45
	v_mul_f64 v[48:49], v[46:47], s[42:43]
	v_fma_f64 v[50:51], v[46:47], s[42:43], -v[48:49]
	v_fmac_f64_e32 v[50:51], s[44:45], v[46:47]
	v_add_f64 v[46:47], v[48:49], v[50:51]
	v_add_f64 v[48:49], v[46:47], -v[48:49]
	v_add_f64 v[48:49], v[50:51], -v[48:49]
	v_add_f64 v[50:51], v[46:47], v[30:31]
	v_add_f64 v[52:53], v[50:51], -v[46:47]
	v_add_f64 v[54:55], v[50:51], -v[52:53]
	;; [unrolled: 1-line block ×4, first 2 shown]
	v_add_f64 v[30:31], v[30:31], v[46:47]
	v_add_f64 v[46:47], v[48:49], v[12:13]
	v_add_f64 v[52:53], v[46:47], -v[48:49]
	v_add_f64 v[54:55], v[46:47], -v[52:53]
	v_add_f64 v[30:31], v[46:47], v[30:31]
	v_add_f64 v[48:49], v[48:49], -v[54:55]
	v_add_f64 v[12:13], v[12:13], -v[52:53]
	v_add_f64 v[46:47], v[50:51], v[30:31]
	v_add_f64 v[12:13], v[12:13], v[48:49]
	v_add_f64 v[48:49], v[46:47], -v[50:51]
	v_add_f64 v[30:31], v[30:31], -v[48:49]
	v_add_f64 v[12:13], v[12:13], v[30:31]
	v_add_f64 v[12:13], v[46:47], v[12:13]
	v_cmp_class_f64_e64 vcc, v[4:5], s34
	v_cndmask_b32_e32 v12, v12, v4, vcc
	v_cndmask_b32_e32 v13, v13, v5, vcc
	v_cmp_ngt_f64_e32 vcc, 0, v[4:5]
	v_cndmask_b32_e32 v13, v1, v13, vcc
	v_cmp_nge_f64_e32 vcc, 0, v[4:5]
	v_cndmask_b32_e32 v12, 0, v12, vcc
	v_cmp_neq_f64_e32 vcc, 0, v[4:5]
	v_cndmask_b32_e32 v13, v32, v13, vcc
	v_add_f64 v[4:5], v[12:13], -v[26:27]
	v_div_scale_f64 v[12:13], s[12:13], s[42:43], s[42:43], v[4:5]
	v_rcp_f64_e32 v[30:31], v[12:13]
	v_mov_b32_e32 v46, 0
	v_mov_b32_e32 v47, 1
	v_fma_f64 v[48:49], -v[12:13], v[30:31], 1.0
	v_fmac_f64_e32 v[30:31], v[30:31], v[48:49]
	v_fma_f64 v[48:49], -v[12:13], v[30:31], 1.0
	v_fmac_f64_e32 v[30:31], v[30:31], v[48:49]
	v_div_scale_f64 v[48:49], vcc, v[4:5], s[42:43], v[4:5]
	v_mul_f64 v[50:51], v[48:49], v[30:31]
	v_fma_f64 v[12:13], -v[12:13], v[50:51], v[48:49]
	s_nop 1
	v_div_fmas_f64 v[12:13], v[12:13], v[30:31], v[50:51]
	v_div_fixup_f64 v[4:5], v[12:13], s[42:43], v[4:5]
	v_cvt_i32_f64_e32 v4, v[4:5]
	v_add_u32_e32 v45, 2, v4
	v_mov_b32_e32 v5, v44
	s_and_saveexec_b64 s[14:15], s[2:3]
	s_cbranch_execz .LBB17_31
; %bb.20:                               ;   in Loop: Header=BB17_4 Depth=1
	s_add_u32 s52, s82, s50
	v_add_f64 v[12:13], v[10:11], -v[6:7]
	s_addc_u32 s53, s83, s51
	s_cmp_gt_i32 s7, 1
	v_cmp_ge_f64_e32 vcc, s[18:19], v[12:13]
	s_cselect_b64 s[54:55], -1, 0
	s_cmp_lt_i32 s7, 2
	v_cndmask_b32_e64 v4, 0, 1, vcc
	ds_write_b8 v38, v38 offset:6661
	s_cbranch_scc1 .LBB17_23
; %bb.21:                               ;   in Loop: Header=BB17_4 Depth=1
	s_xor_b32 s27, s19, 0x80000000
	v_cmp_gt_f64_e64 s[12:13], v[12:13], -s[18:19]
	v_mov_b32_e32 v5, s27
	s_and_b64 vcc, vcc, s[12:13]
	v_cndmask_b32_e32 v13, v13, v5, vcc
	v_mov_b32_e32 v5, s18
	s_add_u32 s56, s92, s50
	v_cndmask_b32_e32 v12, v12, v5, vcc
	s_addc_u32 s57, s93, s51
	s_mov_b64 s[58:59], s[52:53]
	s_mov_b32 s29, s48
.LBB17_22:                              ;   Parent Loop BB17_4 Depth=1
                                        ; =>  This Inner Loop Header: Depth=2
	global_load_dwordx2 v[30:31], v38, s[56:57]
	global_load_dwordx2 v[46:47], v38, s[58:59]
	s_add_i32 s29, s29, -1
	v_mov_b32_e32 v5, s27
	v_mov_b32_e32 v56, s18
	s_waitcnt vmcnt(1)
	v_add_f64 v[30:31], v[30:31], -v[6:7]
	s_waitcnt vmcnt(0)
	v_div_scale_f64 v[48:49], s[12:13], v[12:13], v[12:13], v[46:47]
	v_rcp_f64_e32 v[52:53], v[48:49]
	v_div_scale_f64 v[50:51], vcc, v[46:47], v[12:13], v[46:47]
	v_fma_f64 v[54:55], -v[48:49], v[52:53], 1.0
	v_fmac_f64_e32 v[52:53], v[52:53], v[54:55]
	v_fma_f64 v[54:55], -v[48:49], v[52:53], 1.0
	v_fmac_f64_e32 v[52:53], v[52:53], v[54:55]
	v_mul_f64 v[54:55], v[50:51], v[52:53]
	v_fma_f64 v[48:49], -v[48:49], v[54:55], v[50:51]
	v_div_fmas_f64 v[48:49], v[48:49], v[52:53], v[54:55]
	v_div_fixup_f64 v[12:13], v[48:49], v[12:13], v[46:47]
	v_add_f64 v[12:13], v[30:31], -v[12:13]
	v_cmp_gt_f64_e64 s[60:61], v[12:13], -s[18:19]
	v_cmp_ge_f64_e32 vcc, s[18:19], v[12:13]
	v_addc_co_u32_e64 v4, s[12:13], 0, v4, vcc
	s_and_b64 vcc, vcc, s[60:61]
	s_add_u32 s58, s58, 8
	s_addc_u32 s59, s59, 0
	s_add_u32 s56, s56, 8
	s_addc_u32 s57, s57, 0
	v_cndmask_b32_e32 v13, v13, v5, vcc
	s_cmp_lg_u32 s29, 0
	v_cndmask_b32_e32 v12, v12, v56, vcc
	s_cbranch_scc1 .LBB17_22
.LBB17_23:                              ;   in Loop: Header=BB17_4 Depth=1
	v_add_f64 v[10:11], v[10:11], -v[8:9]
	v_cmp_ge_f64_e64 s[12:13], s[18:19], v[10:11]
	s_andn2_b64 vcc, exec, s[54:55]
	v_cndmask_b32_e64 v5, 0, 1, s[12:13]
	s_cbranch_vccnz .LBB17_26
; %bb.24:                               ;   in Loop: Header=BB17_4 Depth=1
	s_xor_b32 s27, s19, 0x80000000
	v_cmp_gt_f64_e64 s[54:55], v[10:11], -s[18:19]
	v_mov_b32_e32 v12, s27
	s_and_b64 vcc, s[12:13], s[54:55]
	v_cndmask_b32_e32 v11, v11, v12, vcc
	v_mov_b32_e32 v12, s18
	s_add_u32 s54, s92, s50
	v_cndmask_b32_e32 v10, v10, v12, vcc
	s_addc_u32 s55, s93, s51
	s_mov_b32 s29, s48
.LBB17_25:                              ;   Parent Loop BB17_4 Depth=1
                                        ; =>  This Inner Loop Header: Depth=2
	global_load_dwordx2 v[12:13], v38, s[54:55]
	global_load_dwordx2 v[30:31], v38, s[52:53]
	s_add_i32 s29, s29, -1
	v_mov_b32_e32 v54, s27
	v_mov_b32_e32 v55, s18
	s_waitcnt vmcnt(1)
	v_add_f64 v[12:13], v[12:13], -v[8:9]
	s_waitcnt vmcnt(0)
	v_div_scale_f64 v[46:47], s[12:13], v[10:11], v[10:11], v[30:31]
	v_rcp_f64_e32 v[50:51], v[46:47]
	v_div_scale_f64 v[48:49], vcc, v[30:31], v[10:11], v[30:31]
	v_fma_f64 v[52:53], -v[46:47], v[50:51], 1.0
	v_fmac_f64_e32 v[50:51], v[50:51], v[52:53]
	v_fma_f64 v[52:53], -v[46:47], v[50:51], 1.0
	v_fmac_f64_e32 v[50:51], v[50:51], v[52:53]
	v_mul_f64 v[52:53], v[48:49], v[50:51]
	v_fma_f64 v[46:47], -v[46:47], v[52:53], v[48:49]
	v_div_fmas_f64 v[46:47], v[46:47], v[50:51], v[52:53]
	v_div_fixup_f64 v[10:11], v[46:47], v[10:11], v[30:31]
	v_add_f64 v[10:11], v[12:13], -v[10:11]
	v_cmp_gt_f64_e64 s[56:57], v[10:11], -s[18:19]
	v_cmp_ge_f64_e32 vcc, s[18:19], v[10:11]
	v_addc_co_u32_e64 v5, s[12:13], 0, v5, vcc
	s_and_b64 vcc, vcc, s[56:57]
	s_add_u32 s52, s52, 8
	s_addc_u32 s53, s53, 0
	s_add_u32 s54, s54, 8
	s_addc_u32 s55, s55, 0
	v_cndmask_b32_e32 v11, v11, v54, vcc
	s_cmp_lg_u32 s29, 0
	v_cndmask_b32_e32 v10, v10, v55, vcc
	s_cbranch_scc1 .LBB17_25
.LBB17_26:                              ;   in Loop: Header=BB17_4 Depth=1
	v_sub_u32_e32 v10, v5, v4
	v_cmp_gt_i32_e32 vcc, 1, v10
	s_cbranch_vccz .LBB17_28
; %bb.27:                               ;   in Loop: Header=BB17_4 Depth=1
	s_add_u32 s12, s88, s30
	s_addc_u32 s13, s89, s31
	ds_write_b8 v38, v38 offset:6660
	global_store_dword v38, v38, s[12:13]
	s_mov_b32 s27, 1
	s_mov_b32 s29, 0
	s_cbranch_execz .LBB17_29
	s_branch .LBB17_30
.LBB17_28:                              ;   in Loop: Header=BB17_4 Depth=1
                                        ; implicit-def: $sgpr29
                                        ; implicit-def: $sgpr27
.LBB17_29:                              ;   in Loop: Header=BB17_4 Depth=1
	s_add_i32 s12, s26, s37
	s_lshl_b32 s12, s12, 1
	s_ashr_i32 s13, s12, 31
	s_lshl_b64 s[52:53], s[12:13], 3
	s_add_u32 s52, s84, s52
	s_addc_u32 s53, s85, s53
	global_store_dwordx4 v38, v[6:9], s[52:53]
	s_add_u32 s52, s88, s30
	s_addc_u32 s53, s89, s31
	s_lshl_b64 s[12:13], s[12:13], 2
	s_add_u32 s12, s86, s12
	s_mov_b32 s27, 1
	s_addc_u32 s13, s87, s13
	s_mov_b32 s29, 0
	ds_write_b8 v38, v39 offset:6660
	global_store_dword v38, v10, s[52:53]
	global_store_dwordx2 v38, v[4:5], s[12:13]
.LBB17_30:                              ;   in Loop: Header=BB17_4 Depth=1
	v_mov_b32_e32 v46, s29
	v_mov_b32_e32 v47, s27
.LBB17_31:                              ;   in Loop: Header=BB17_4 Depth=1
	s_or_b64 exec, exec, s[14:15]
.LBB17_32:                              ;   in Loop: Header=BB17_4 Depth=1
	s_waitcnt lgkmcnt(0)
	s_barrier
	ds_read_u8 v4, v38 offset:6660
	s_mov_b64 s[54:55], 0
	s_waitcnt lgkmcnt(0)
	v_cmp_eq_u32_e32 vcc, 0, v4
	s_cbranch_vccnz .LBB17_77
; %bb.33:                               ;   in Loop: Header=BB17_4 Depth=1
	ds_read_u8 v4, v38 offset:6661
	v_cmp_lt_i32_e32 vcc, v46, v45
	s_mov_b64 s[54:55], -1
	v_mov_b32_e32 v48, v41
	s_waitcnt lgkmcnt(0)
	v_readfirstlane_b32 s12, v4
	s_bitcmp1_b32 s12, 0
	s_cselect_b64 s[12:13], -1, 0
	s_xor_b64 s[12:13], s[12:13], -1
	s_and_b64 s[12:13], s[12:13], vcc
	s_and_saveexec_b64 s[52:53], s[12:13]
	s_cbranch_execz .LBB17_79
; %bb.34:                               ;   in Loop: Header=BB17_4 Depth=1
	s_add_i32 s12, s26, s37
	s_lshl_b32 s27, s12, 1
	s_cmp_gt_i32 s7, 1
	v_mov_b32_e32 v4, s25
	s_cselect_b64 s[54:55], -1, 0
	v_cndmask_b32_e64 v3, v4, v3, s[0:1]
	v_mov_b32_e32 v4, s24
	s_lshl_b32 s7, s26, 1
	v_cndmask_b32_e64 v2, v4, v2, s[0:1]
	s_add_u32 s56, s82, s50
	v_mov_b32_e32 v4, s19
	v_cmp_gt_f64_e32 vcc, s[18:19], v[2:3]
	s_addc_u32 s57, s83, s51
	v_cndmask_b32_e32 v31, v3, v4, vcc
	v_mov_b32_e32 v3, s18
	s_add_u32 s50, s92, s50
	v_cndmask_b32_e32 v30, v2, v3, vcc
	s_addc_u32 s51, s93, s51
	s_mov_b64 s[58:59], 0
                                        ; implicit-def: $sgpr60_sgpr61
	s_branch .LBB17_37
.LBB17_35:                              ;   in Loop: Header=BB17_37 Depth=2
	s_mov_b64 s[14:15], -1
	s_mov_b64 s[12:13], 0
.LBB17_36:                              ;   in Loop: Header=BB17_37 Depth=2
	s_and_b64 s[14:15], exec, s[14:15]
	s_or_b64 s[58:59], s[14:15], s[58:59]
	s_andn2_b64 s[14:15], s[60:61], exec
	s_and_b64 s[12:13], s[12:13], exec
	s_or_b64 s[60:61], s[14:15], s[12:13]
	s_andn2_b64 exec, exec, s[58:59]
	s_cbranch_execz .LBB17_78
.LBB17_37:                              ;   Parent Loop BB17_4 Depth=1
                                        ; =>  This Loop Header: Depth=2
                                        ;       Child Loop BB17_42 Depth 3
                                        ;         Child Loop BB17_45 Depth 4
                                        ;         Child Loop BB17_59 Depth 4
	;; [unrolled: 1-line block ×3, first 2 shown]
	s_and_saveexec_b64 s[12:13], s[2:3]
	s_cbranch_execz .LBB17_39
; %bb.38:                               ;   in Loop: Header=BB17_37 Depth=2
	ds_write_b32 v38, v38 offset:6656
.LBB17_39:                              ;   in Loop: Header=BB17_37 Depth=2
	s_or_b64 exec, exec, s[12:13]
	v_and_b32_e32 v2, 1, v46
	v_mov_b32_e32 v3, s27
	v_mov_b32_e32 v4, s7
	v_cmp_eq_u32_e32 vcc, 0, v2
	v_cndmask_b32_e32 v48, v3, v4, vcc
	v_cmp_lt_i32_e64 s[12:13], 0, v47
	s_and_saveexec_b64 s[62:63], s[12:13]
	s_cbranch_execz .LBB17_72
; %bb.40:                               ;   in Loop: Header=BB17_37 Depth=2
	v_mov_b32_e32 v2, s7
	v_mov_b32_e32 v3, s27
	v_cndmask_b32_e32 v49, v2, v3, vcc
	s_mov_b32 s29, 0
	s_mov_b64 s[64:65], 0
	s_branch .LBB17_42
.LBB17_41:                              ;   in Loop: Header=BB17_42 Depth=3
	s_or_b64 exec, exec, s[12:13]
	s_addk_i32 s29, 0x80
	v_cmp_ge_i32_e32 vcc, s29, v47
	s_or_b64 s[64:65], vcc, s[64:65]
	s_waitcnt lgkmcnt(0)
	s_barrier
	s_andn2_b64 exec, exec, s[64:65]
	s_cbranch_execz .LBB17_71
.LBB17_42:                              ;   Parent Loop BB17_4 Depth=1
                                        ;     Parent Loop BB17_37 Depth=2
                                        ; =>    This Loop Header: Depth=3
                                        ;         Child Loop BB17_45 Depth 4
                                        ;         Child Loop BB17_59 Depth 4
	;; [unrolled: 1-line block ×3, first 2 shown]
	v_add_u32_e32 v2, s29, v0
	v_cmp_lt_i32_e64 s[12:13], v2, v47
	s_and_saveexec_b64 s[66:67], s[12:13]
	s_cbranch_execz .LBB17_55
; %bb.43:                               ;   in Loop: Header=BB17_42 Depth=3
	v_lshl_add_u32 v2, v2, 1, v49
	v_ashrrev_i32_e32 v3, 31, v2
	v_lshlrev_b64 v[4:5], 3, v[2:3]
	v_mov_b32_e32 v6, s85
	v_add_co_u32_e32 v4, vcc, s84, v4
	v_addc_co_u32_e32 v5, vcc, v6, v5, vcc
	global_load_dwordx4 v[6:9], v[4:5], off
	v_lshlrev_b64 v[4:5], 2, v[2:3]
	global_load_dwordx2 v[2:3], v38, s[46:47]
	v_mov_b32_e32 v10, s87
	v_add_co_u32_e32 v4, vcc, s86, v4
	v_addc_co_u32_e32 v5, vcc, v10, v5, vcc
	global_load_dwordx2 v[4:5], v[4:5], off
	s_andn2_b64 vcc, exec, s[54:55]
	s_waitcnt vmcnt(2)
	v_add_f64 v[12:13], v[6:7], v[8:9]
	v_mul_f64 v[10:11], v[12:13], 0.5
	s_waitcnt vmcnt(1)
	v_fmac_f64_e32 v[2:3], -0.5, v[12:13]
	v_cmp_ge_f64_e64 s[14:15], s[18:19], v[2:3]
	v_cndmask_b32_e64 v12, 0, 1, s[14:15]
	s_cbranch_vccnz .LBB17_46
; %bb.44:                               ;   in Loop: Header=BB17_42 Depth=3
	s_xor_b32 s49, s19, 0x80000000
	v_cmp_gt_f64_e64 s[68:69], v[2:3], -s[18:19]
	v_mov_b32_e32 v13, s49
	s_and_b64 vcc, s[14:15], s[68:69]
	v_cndmask_b32_e32 v3, v3, v13, vcc
	v_mov_b32_e32 v13, s18
	v_cndmask_b32_e32 v2, v2, v13, vcc
	s_mov_b64 s[68:69], s[50:51]
	s_mov_b64 s[70:71], s[56:57]
	s_mov_b32 s35, s48
.LBB17_45:                              ;   Parent Loop BB17_4 Depth=1
                                        ;     Parent Loop BB17_37 Depth=2
                                        ;       Parent Loop BB17_42 Depth=3
                                        ; =>      This Inner Loop Header: Depth=4
	global_load_dwordx2 v[50:51], v38, s[68:69]
	global_load_dwordx2 v[52:53], v38, s[70:71]
	s_add_i32 s35, s35, -1
	v_mov_b32_e32 v13, s49
	v_mov_b32_e32 v62, s18
	s_waitcnt vmcnt(1)
	v_add_f64 v[50:51], v[50:51], -v[10:11]
	s_waitcnt vmcnt(0)
	v_div_scale_f64 v[54:55], s[14:15], v[2:3], v[2:3], v[52:53]
	v_rcp_f64_e32 v[58:59], v[54:55]
	v_div_scale_f64 v[56:57], vcc, v[52:53], v[2:3], v[52:53]
	v_fma_f64 v[60:61], -v[54:55], v[58:59], 1.0
	v_fmac_f64_e32 v[58:59], v[58:59], v[60:61]
	v_fma_f64 v[60:61], -v[54:55], v[58:59], 1.0
	v_fmac_f64_e32 v[58:59], v[58:59], v[60:61]
	v_mul_f64 v[60:61], v[56:57], v[58:59]
	v_fma_f64 v[54:55], -v[54:55], v[60:61], v[56:57]
	v_div_fmas_f64 v[54:55], v[54:55], v[58:59], v[60:61]
	v_div_fixup_f64 v[2:3], v[54:55], v[2:3], v[52:53]
	v_add_f64 v[2:3], v[50:51], -v[2:3]
	v_cmp_gt_f64_e64 s[20:21], v[2:3], -s[18:19]
	v_cmp_ge_f64_e32 vcc, s[18:19], v[2:3]
	v_addc_co_u32_e64 v12, s[14:15], 0, v12, vcc
	s_and_b64 vcc, vcc, s[20:21]
	s_add_u32 s70, s70, 8
	s_addc_u32 s71, s71, 0
	s_add_u32 s68, s68, 8
	s_addc_u32 s69, s69, 0
	v_cndmask_b32_e32 v3, v3, v13, vcc
	s_cmp_lg_u32 s35, 0
	v_cndmask_b32_e32 v2, v2, v62, vcc
	s_cbranch_scc1 .LBB17_45
.LBB17_46:                              ;   in Loop: Header=BB17_42 Depth=3
	s_waitcnt vmcnt(0)
	v_max_i32_e32 v2, v12, v4
	v_min_i32_e32 v3, v2, v5
	v_cmp_ne_u32_e32 vcc, v3, v4
	s_and_saveexec_b64 s[14:15], vcc
	s_xor_b64 s[14:15], exec, s[14:15]
	s_cbranch_execz .LBB17_52
; %bb.47:                               ;   in Loop: Header=BB17_42 Depth=3
	v_cmp_le_i32_e32 vcc, v5, v2
	s_and_saveexec_b64 s[20:21], vcc
	s_xor_b64 s[68:69], exec, s[20:21]
	s_cbranch_execz .LBB17_49
; %bb.48:                               ;   in Loop: Header=BB17_42 Depth=3
	v_mov_b32_e32 v8, v10
	v_mov_b32_e32 v9, v11
	;; [unrolled: 1-line block ×3, first 2 shown]
	ds_write_b32 v34, v38
	ds_write_b128 v35, v[6:9]
	ds_write_b64 v36, v[2:3]
                                        ; implicit-def: $vgpr6_vgpr7
                                        ; implicit-def: $vgpr10_vgpr11
.LBB17_49:                              ;   in Loop: Header=BB17_42 Depth=3
	s_andn2_saveexec_b64 s[68:69], s[68:69]
	s_cbranch_execz .LBB17_51
; %bb.50:                               ;   in Loop: Header=BB17_42 Depth=3
	v_mov_b32_e32 v50, v6
	v_mov_b32_e32 v51, v7
	;; [unrolled: 1-line block ×8, first 2 shown]
	ds_write_b32 v34, v39
	ds_write_b128 v35, v[50:53]
	ds_write_b128 v35, v[10:13] offset:16
	ds_write_b128 v36, v[2:5]
.LBB17_51:                              ;   in Loop: Header=BB17_42 Depth=3
	s_or_b64 exec, exec, s[68:69]
                                        ; implicit-def: $vgpr10_vgpr11
                                        ; implicit-def: $vgpr8_vgpr9
.LBB17_52:                              ;   in Loop: Header=BB17_42 Depth=3
	s_andn2_saveexec_b64 s[14:15], s[14:15]
	s_cbranch_execz .LBB17_54
; %bb.53:                               ;   in Loop: Header=BB17_42 Depth=3
	v_mov_b32_e32 v12, v8
	v_mov_b32_e32 v13, v9
	ds_write_b32 v34, v38
	ds_write_b128 v35, v[10:13]
	ds_write_b64 v36, v[4:5]
.LBB17_54:                              ;   in Loop: Header=BB17_42 Depth=3
	s_or_b64 exec, exec, s[14:15]
.LBB17_55:                              ;   in Loop: Header=BB17_42 Depth=3
	s_or_b64 exec, exec, s[66:67]
	s_waitcnt lgkmcnt(0)
	s_barrier
	s_and_saveexec_b64 s[14:15], s[12:13]
	s_cbranch_execz .LBB17_69
; %bb.56:                               ;   in Loop: Header=BB17_42 Depth=3
	v_mov_b32_e32 v5, 0
	s_and_saveexec_b64 s[12:13], s[4:5]
	s_cbranch_execz .LBB17_66
; %bb.57:                               ;   in Loop: Header=BB17_42 Depth=3
	s_mov_b64 s[68:69], -1
	v_mov_b32_e32 v5, 0
	v_mov_b32_e32 v3, 0
	s_and_saveexec_b64 s[66:67], s[8:9]
	s_cbranch_execz .LBB17_61
; %bb.58:                               ;   in Loop: Header=BB17_42 Depth=3
	s_movk_i32 s35, 0x1800
	s_mov_b64 s[68:69], 0
	v_mov_b32_e32 v2, 0
	v_mov_b32_e32 v3, v37
	;; [unrolled: 1-line block ×5, first 2 shown]
.LBB17_59:                              ;   Parent Loop BB17_4 Depth=1
                                        ;     Parent Loop BB17_37 Depth=2
                                        ;       Parent Loop BB17_42 Depth=3
                                        ; =>      This Inner Loop Header: Depth=4
	v_mov_b32_e32 v7, s35
	ds_read_b128 v[8:11], v7
	v_add_u32_e32 v3, -4, v3
	s_add_i32 s35, s35, 16
	v_cmp_eq_u32_e32 vcc, 0, v3
	s_or_b64 s[68:69], vcc, s[68:69]
	s_waitcnt lgkmcnt(0)
	v_add_u32_e32 v4, v9, v4
	v_add_u32_e32 v2, v8, v2
	v_add_u32_e32 v6, v11, v6
	v_add_u32_e32 v5, v10, v5
	s_andn2_b64 exec, exec, s[68:69]
	s_cbranch_execnz .LBB17_59
; %bb.60:                               ;   in Loop: Header=BB17_42 Depth=3
	s_or_b64 exec, exec, s[68:69]
	v_add_u32_e32 v3, v6, v4
	v_add3_u32 v5, v5, v2, v3
	s_orn2_b64 s[68:69], s[10:11], exec
	v_mov_b32_e32 v3, v37
.LBB17_61:                              ;   in Loop: Header=BB17_42 Depth=3
	s_or_b64 exec, exec, s[66:67]
	s_and_saveexec_b64 s[66:67], s[68:69]
	s_cbranch_execz .LBB17_65
; %bb.62:                               ;   in Loop: Header=BB17_42 Depth=3
	v_sub_u32_e32 v2, v0, v3
	v_lshl_or_b32 v3, v3, 2, v33
	s_mov_b64 s[68:69], 0
.LBB17_63:                              ;   Parent Loop BB17_4 Depth=1
                                        ;     Parent Loop BB17_37 Depth=2
                                        ;       Parent Loop BB17_42 Depth=3
                                        ; =>      This Inner Loop Header: Depth=4
	ds_read_b32 v4, v3
	v_add_u32_e32 v2, -1, v2
	v_cmp_eq_u32_e32 vcc, 0, v2
	v_add_u32_e32 v3, 4, v3
	s_or_b64 s[68:69], vcc, s[68:69]
	s_waitcnt lgkmcnt(0)
	v_add_u32_e32 v5, v4, v5
	s_andn2_b64 exec, exec, s[68:69]
	s_cbranch_execnz .LBB17_63
; %bb.64:                               ;   in Loop: Header=BB17_42 Depth=3
	s_or_b64 exec, exec, s[68:69]
.LBB17_65:                              ;   in Loop: Header=BB17_42 Depth=3
	s_or_b64 exec, exec, s[66:67]
.LBB17_66:                              ;   in Loop: Header=BB17_42 Depth=3
	s_or_b64 exec, exec, s[12:13]
	ds_read_b32 v2, v38 offset:6656
	ds_read_b64 v[12:13], v36
	ds_read_b128 v[8:11], v35
	ds_read_b32 v50, v34
	v_mov_b32_e32 v4, s85
	s_waitcnt lgkmcnt(3)
	v_add3_u32 v2, v5, v0, v2
	v_lshl_add_u32 v6, v2, 1, v48
	v_ashrrev_i32_e32 v7, 31, v6
	v_lshlrev_b64 v[2:3], 3, v[6:7]
	v_add_co_u32_e32 v2, vcc, s84, v2
	v_addc_co_u32_e32 v3, vcc, v4, v3, vcc
	v_lshlrev_b64 v[6:7], 2, v[6:7]
	v_mov_b32_e32 v4, s87
	v_add_co_u32_e32 v6, vcc, s86, v6
	v_addc_co_u32_e32 v7, vcc, v4, v7, vcc
	s_waitcnt lgkmcnt(0)
	v_cmp_ne_u32_e32 vcc, 0, v50
	global_store_dwordx4 v[2:3], v[8:11], off
	global_store_dwordx2 v[6:7], v[12:13], off
	s_and_saveexec_b64 s[12:13], vcc
	s_cbranch_execz .LBB17_68
; %bb.67:                               ;   in Loop: Header=BB17_42 Depth=3
	ds_read_b128 v[8:11], v35 offset:16
	ds_read_b64 v[12:13], v36 offset:8
	s_waitcnt lgkmcnt(1)
	global_store_dwordx4 v[2:3], v[8:11], off offset:16
	s_waitcnt lgkmcnt(0)
	global_store_dwordx2 v[6:7], v[12:13], off offset:8
.LBB17_68:                              ;   in Loop: Header=BB17_42 Depth=3
	s_or_b64 exec, exec, s[12:13]
.LBB17_69:                              ;   in Loop: Header=BB17_42 Depth=3
	s_or_b64 exec, exec, s[14:15]
	v_subrev_u32_e32 v2, s29, v47
	v_min_i32_e32 v2, 0x80, v2
	v_add_u32_e32 v3, -1, v2
	v_cmp_eq_u32_e32 vcc, v3, v0
	s_barrier
	s_and_saveexec_b64 s[12:13], vcc
	s_cbranch_execz .LBB17_41
; %bb.70:                               ;   in Loop: Header=BB17_42 Depth=3
	ds_read_b32 v3, v34
	ds_read_b32 v4, v38 offset:6656
	v_add_u32_e32 v2, v5, v2
	s_waitcnt lgkmcnt(0)
	v_add3_u32 v2, v2, v3, v4
	ds_write_b32 v38, v2 offset:6656
	s_branch .LBB17_41
.LBB17_71:                              ;   in Loop: Header=BB17_37 Depth=2
	s_or_b64 exec, exec, s[64:65]
.LBB17_72:                              ;   in Loop: Header=BB17_37 Depth=2
	s_or_b64 exec, exec, s[62:63]
	ds_read_b32 v47, v38 offset:6656
	s_and_saveexec_b64 s[12:13], s[2:3]
	s_cbranch_execz .LBB17_75
; %bb.73:                               ;   in Loop: Header=BB17_37 Depth=2
	ds_read_b128 v[6:9], v38
	s_waitcnt lgkmcnt(0)
	v_cmp_lt_f64_e64 vcc, |v[6:7]|, |v[8:9]|
	v_add_f64 v[2:3], v[8:9], -v[6:7]
	v_cndmask_b32_e32 v7, v7, v9, vcc
	v_cndmask_b32_e32 v6, v6, v8, vcc
	v_mul_f64 v[6:7], v[28:29], |v[6:7]|
	v_cmp_lt_f64_e32 vcc, v[30:31], v[6:7]
	v_cndmask_b32_e32 v7, v31, v7, vcc
	v_cndmask_b32_e32 v6, v30, v6, vcc
	v_cmp_nlt_f64_e32 vcc, v[2:3], v[6:7]
	s_cbranch_vccnz .LBB17_75
; %bb.74:                               ;   in Loop: Header=BB17_37 Depth=2
	ds_write_b8 v38, v39 offset:6661
.LBB17_75:                              ;   in Loop: Header=BB17_37 Depth=2
	s_or_b64 exec, exec, s[12:13]
	s_waitcnt lgkmcnt(0)
	s_barrier
	ds_read_u8 v2, v38 offset:6660
	v_add_u32_e32 v46, 1, v46
	s_waitcnt lgkmcnt(0)
	v_readfirstlane_b32 s12, v2
	s_bitcmp1_b32 s12, 0
	s_cselect_b64 s[12:13], -1, 0
	s_and_b64 vcc, exec, s[12:13]
	s_cbranch_vccz .LBB17_35
; %bb.76:                               ;   in Loop: Header=BB17_37 Depth=2
	ds_read_u8 v2, v38 offset:6661
	v_cmp_ge_i32_e32 vcc, v46, v45
	s_waitcnt lgkmcnt(0)
	v_and_b32_e32 v2, 1, v2
	v_cmp_eq_u32_e64 s[12:13], 1, v2
	s_or_b64 s[14:15], s[12:13], vcc
	s_mov_b64 s[12:13], -1
	s_orn2_b64 s[14:15], s[14:15], exec
	s_branch .LBB17_36
.LBB17_77:                              ;   in Loop: Header=BB17_4 Depth=1
	v_mov_b32_e32 v48, v41
	s_and_saveexec_b64 s[12:13], s[2:3]
	s_cbranch_execnz .LBB17_80
	s_branch .LBB17_92
.LBB17_78:                              ;   in Loop: Header=BB17_4 Depth=1
	s_or_b64 exec, exec, s[58:59]
	s_orn2_b64 s[54:55], s[60:61], exec
.LBB17_79:                              ;   in Loop: Header=BB17_4 Depth=1
	s_or_b64 exec, exec, s[52:53]
	s_and_saveexec_b64 s[12:13], s[2:3]
	s_cbranch_execz .LBB17_92
.LBB17_80:                              ;   in Loop: Header=BB17_4 Depth=1
	s_and_saveexec_b64 s[14:15], s[54:55]
	s_cbranch_execz .LBB17_91
; %bb.81:                               ;   in Loop: Header=BB17_4 Depth=1
	ds_read_u8 v2, v38 offset:6661
	v_cmp_lt_i32_e32 vcc, 0, v47
	s_waitcnt lgkmcnt(0)
	v_readfirstlane_b32 s7, v2
	s_bitcmp1_b32 s7, 0
	s_cselect_b64 s[46:47], -1, 0
	s_and_saveexec_b64 s[48:49], vcc
	s_cbranch_execz .LBB17_89
; %bb.82:                               ;   in Loop: Header=BB17_4 Depth=1
	s_add_i32 s7, s6, 1
	s_not_b32 s27, s6
	s_and_b64 s[20:21], s[46:47], exec
	s_cselect_b32 s7, s7, s27
	s_mov_b32 s27, 0
	s_mov_b64 s[50:51], 0
	v_mov_b32_e32 v10, 0
	s_branch .LBB17_84
.LBB17_83:                              ;   in Loop: Header=BB17_84 Depth=2
	s_or_b64 exec, exec, s[52:53]
	s_add_i32 s27, s27, 1
	v_cmp_eq_u32_e32 vcc, s27, v47
	s_or_b64 s[50:51], vcc, s[50:51]
	s_andn2_b64 exec, exec, s[50:51]
	s_cbranch_execz .LBB17_88
.LBB17_84:                              ;   Parent Loop BB17_4 Depth=1
                                        ; =>  This Loop Header: Depth=2
                                        ;       Child Loop BB17_86 Depth 3
	v_lshl_add_u32 v2, s27, 1, v48
	v_ashrrev_i32_e32 v3, 31, v2
	v_lshlrev_b64 v[4:5], 2, v[2:3]
	v_mov_b32_e32 v6, s87
	v_add_co_u32_e32 v4, vcc, s86, v4
	v_addc_co_u32_e32 v5, vcc, v6, v5, vcc
	global_load_dwordx2 v[4:5], v[4:5], off
	s_waitcnt vmcnt(0)
	v_sub_u32_e32 v4, v5, v4
	v_cmp_lt_i32_e32 vcc, 0, v4
	s_and_saveexec_b64 s[52:53], vcc
	s_cbranch_execz .LBB17_83
; %bb.85:                               ;   in Loop: Header=BB17_84 Depth=2
	v_lshlrev_b64 v[2:3], 3, v[2:3]
	v_mov_b32_e32 v6, s85
	v_add_co_u32_e32 v2, vcc, s84, v2
	v_addc_co_u32_e32 v3, vcc, v6, v3, vcc
	global_load_dwordx4 v[50:53], v[2:3], off
	v_add_u32_e32 v2, s26, v10
	v_ashrrev_i32_e32 v3, 31, v2
	v_lshlrev_b64 v[6:7], 3, v[2:3]
	v_mov_b32_e32 v11, s77
	v_lshlrev_b64 v[8:9], 2, v[2:3]
	v_add_co_u32_e32 v2, vcc, s76, v6
	v_addc_co_u32_e32 v3, vcc, v11, v7, vcc
	v_mov_b32_e32 v12, s79
	v_add_co_u32_e32 v6, vcc, s78, v8
	v_addc_co_u32_e32 v7, vcc, v12, v9, vcc
	s_mov_b32 s29, 0
	s_mov_b64 s[54:55], 0
	s_waitcnt vmcnt(0)
	v_add_f64 v[8:9], v[50:51], v[52:53]
	v_mul_f64 v[8:9], v[8:9], 0.5
.LBB17_86:                              ;   Parent Loop BB17_4 Depth=1
                                        ;     Parent Loop BB17_84 Depth=2
                                        ; =>    This Inner Loop Header: Depth=3
	global_store_dwordx2 v[2:3], v[8:9], off
	v_add_co_u32_e32 v2, vcc, 8, v2
	v_mov_b32_e32 v11, s7
	v_addc_co_u32_e32 v3, vcc, 0, v3, vcc
	global_store_dword v[6:7], v11, off
	v_add_co_u32_e32 v6, vcc, 4, v6
	s_add_i32 s29, s29, 1
	v_addc_co_u32_e32 v7, vcc, 0, v7, vcc
	v_cmp_ge_i32_e32 vcc, s29, v4
	s_or_b64 s[54:55], vcc, s[54:55]
	v_add_u32_e32 v11, s29, v10
	s_andn2_b64 exec, exec, s[54:55]
	s_cbranch_execnz .LBB17_86
; %bb.87:                               ;   in Loop: Header=BB17_84 Depth=2
	s_or_b64 exec, exec, s[54:55]
	v_mov_b32_e32 v10, v11
	s_branch .LBB17_83
.LBB17_88:                              ;   in Loop: Header=BB17_4 Depth=1
	s_or_b64 exec, exec, s[50:51]
.LBB17_89:                              ;   in Loop: Header=BB17_4 Depth=1
	s_or_b64 exec, exec, s[48:49]
	s_xor_b64 s[46:47], s[46:47], -1
	s_and_b64 vcc, exec, s[46:47]
	s_cbranch_vccz .LBB17_91
; %bb.90:                               ;   in Loop: Header=BB17_4 Depth=1
	v_readlane_b32 s20, v63, 0
	v_readlane_b32 s21, v63, 1
	s_nop 4
	global_store_dword v38, v39, s[20:21]
.LBB17_91:                              ;   in Loop: Header=BB17_4 Depth=1
	s_or_b64 exec, exec, s[14:15]
.LBB17_92:                              ;   in Loop: Header=BB17_4 Depth=1
	s_or_b64 exec, exec, s[12:13]
	s_branch .LBB17_3
.LBB17_93:                              ;   in Loop: Header=BB17_4 Depth=1
	s_and_saveexec_b64 s[12:13], s[2:3]
	s_cbranch_execz .LBB17_2
; %bb.94:                               ;   in Loop: Header=BB17_4 Depth=1
	s_ashr_i32 s27, s26, 31
	s_lshl_b64 s[14:15], s[26:27], 3
	s_add_u32 s46, s72, s14
	s_addc_u32 s47, s73, s15
	global_load_dwordx2 v[2:3], v38, s[46:47]
	s_andn2_b64 vcc, exec, s[22:23]
	s_cbranch_vccnz .LBB17_98
; %bb.95:                               ;   in Loop: Header=BB17_4 Depth=1
	global_load_dwordx2 v[6:7], v38, s[16:17]
	s_waitcnt vmcnt(1)
	v_add_f64 v[4:5], v[2:3], -s[18:19]
	s_mov_b64 s[46:47], 0
	s_waitcnt vmcnt(0)
	v_cmp_lt_f64_e32 vcc, v[6:7], v[4:5]
	v_cmp_nlt_f64_e64 s[48:49], v[6:7], v[4:5]
	s_cbranch_vccnz .LBB17_99
; %bb.96:                               ;   in Loop: Header=BB17_4 Depth=1
	s_andn2_b64 vcc, exec, s[48:49]
	s_cbranch_vccz .LBB17_100
.LBB17_97:                              ;   in Loop: Header=BB17_4 Depth=1
	s_and_b64 vcc, exec, s[46:47]
	s_cbranch_vccz .LBB17_2
	s_branch .LBB17_101
.LBB17_98:                              ;   in Loop: Header=BB17_4 Depth=1
	s_cbranch_execz .LBB17_2
	s_branch .LBB17_101
.LBB17_99:                              ;   in Loop: Header=BB17_4 Depth=1
	global_load_dwordx2 v[6:7], v38, s[16:17] offset:8
	s_mov_b64 s[46:47], -1
	s_waitcnt vmcnt(0)
	v_cmp_nge_f64_e64 s[48:49], v[6:7], v[4:5]
	s_andn2_b64 vcc, exec, s[48:49]
	s_cbranch_vccnz .LBB17_97
.LBB17_100:                             ;   in Loop: Header=BB17_4 Depth=1
	s_add_u32 s46, s88, s30
	s_addc_u32 s47, s89, s31
	global_store_dword v38, v38, s[46:47]
	s_branch .LBB17_2
.LBB17_101:                             ;   in Loop: Header=BB17_4 Depth=1
	s_add_u32 s14, s76, s14
	s_addc_u32 s15, s77, s15
	s_waitcnt vmcnt(0)
	global_store_dwordx2 v38, v[2:3], s[14:15]
	s_add_u32 s14, s88, s30
	s_addc_u32 s15, s89, s31
	global_store_dword v38, v39, s[14:15]
	s_add_i32 s7, s6, 1
	s_lshl_b64 s[14:15], s[26:27], 2
	s_add_u32 s14, s78, s14
	s_addc_u32 s15, s79, s15
	v_mov_b32_e32 v2, s7
	global_store_dword v38, v2, s[14:15]
	s_branch .LBB17_2
.LBB17_102:
	s_endpgm
	.section	.rodata,"a",@progbits
	.p2align	6, 0x0
	.amdhsa_kernel _ZN9rocsolver6v33100L22stebz_bisection_kernelIdPdEEv15rocblas_erange_iT_T0_iiS5_iiPiPS4_lS6_lS6_lS6_S6_S7_S7_S7_S7_S6_S4_S4_
		.amdhsa_group_segment_fixed_size 6664
		.amdhsa_private_segment_fixed_size 0
		.amdhsa_kernarg_size 176
		.amdhsa_user_sgpr_count 6
		.amdhsa_user_sgpr_private_segment_buffer 1
		.amdhsa_user_sgpr_dispatch_ptr 0
		.amdhsa_user_sgpr_queue_ptr 0
		.amdhsa_user_sgpr_kernarg_segment_ptr 1
		.amdhsa_user_sgpr_dispatch_id 0
		.amdhsa_user_sgpr_flat_scratch_init 0
		.amdhsa_user_sgpr_kernarg_preload_length 0
		.amdhsa_user_sgpr_kernarg_preload_offset 0
		.amdhsa_user_sgpr_private_segment_size 0
		.amdhsa_uses_dynamic_stack 0
		.amdhsa_system_sgpr_private_segment_wavefront_offset 0
		.amdhsa_system_sgpr_workgroup_id_x 1
		.amdhsa_system_sgpr_workgroup_id_y 1
		.amdhsa_system_sgpr_workgroup_id_z 0
		.amdhsa_system_sgpr_workgroup_info 0
		.amdhsa_system_vgpr_workitem_id 0
		.amdhsa_next_free_vgpr 64
		.amdhsa_next_free_sgpr 96
		.amdhsa_accum_offset 64
		.amdhsa_reserve_vcc 1
		.amdhsa_reserve_flat_scratch 0
		.amdhsa_float_round_mode_32 0
		.amdhsa_float_round_mode_16_64 0
		.amdhsa_float_denorm_mode_32 3
		.amdhsa_float_denorm_mode_16_64 3
		.amdhsa_dx10_clamp 1
		.amdhsa_ieee_mode 1
		.amdhsa_fp16_overflow 0
		.amdhsa_tg_split 0
		.amdhsa_exception_fp_ieee_invalid_op 0
		.amdhsa_exception_fp_denorm_src 0
		.amdhsa_exception_fp_ieee_div_zero 0
		.amdhsa_exception_fp_ieee_overflow 0
		.amdhsa_exception_fp_ieee_underflow 0
		.amdhsa_exception_fp_ieee_inexact 0
		.amdhsa_exception_int_div_zero 0
	.end_amdhsa_kernel
	.section	.text._ZN9rocsolver6v33100L22stebz_bisection_kernelIdPdEEv15rocblas_erange_iT_T0_iiS5_iiPiPS4_lS6_lS6_lS6_S6_S7_S7_S7_S7_S6_S4_S4_,"axG",@progbits,_ZN9rocsolver6v33100L22stebz_bisection_kernelIdPdEEv15rocblas_erange_iT_T0_iiS5_iiPiPS4_lS6_lS6_lS6_S6_S7_S7_S7_S7_S6_S4_S4_,comdat
.Lfunc_end17:
	.size	_ZN9rocsolver6v33100L22stebz_bisection_kernelIdPdEEv15rocblas_erange_iT_T0_iiS5_iiPiPS4_lS6_lS6_lS6_S6_S7_S7_S7_S7_S6_S4_S4_, .Lfunc_end17-_ZN9rocsolver6v33100L22stebz_bisection_kernelIdPdEEv15rocblas_erange_iT_T0_iiS5_iiPiPS4_lS6_lS6_lS6_S6_S7_S7_S7_S7_S6_S4_S4_
                                        ; -- End function
	.section	.AMDGPU.csdata,"",@progbits
; Kernel info:
; codeLenInByte = 5844
; NumSgprs: 100
; NumVgprs: 64
; NumAgprs: 0
; TotalNumVgprs: 64
; ScratchSize: 0
; MemoryBound: 0
; FloatMode: 240
; IeeeMode: 1
; LDSByteSize: 6664 bytes/workgroup (compile time only)
; SGPRBlocks: 12
; VGPRBlocks: 7
; NumSGPRsForWavesPerEU: 100
; NumVGPRsForWavesPerEU: 64
; AccumOffset: 64
; Occupancy: 5
; WaveLimiterHint : 1
; COMPUTE_PGM_RSRC2:SCRATCH_EN: 0
; COMPUTE_PGM_RSRC2:USER_SGPR: 6
; COMPUTE_PGM_RSRC2:TRAP_HANDLER: 0
; COMPUTE_PGM_RSRC2:TGID_X_EN: 1
; COMPUTE_PGM_RSRC2:TGID_Y_EN: 1
; COMPUTE_PGM_RSRC2:TGID_Z_EN: 0
; COMPUTE_PGM_RSRC2:TIDIG_COMP_CNT: 0
; COMPUTE_PGM_RSRC3_GFX90A:ACCUM_OFFSET: 15
; COMPUTE_PGM_RSRC3_GFX90A:TG_SPLIT: 0
	.section	.text._ZN9rocsolver6v33100L22stebz_synthesis_kernelIdPdEEv15rocblas_erange_15rocblas_eorder_iiiT0_iiPiS6_PT_lS6_lS6_liS6_S8_S8_S8_S8_S6_S7_,"axG",@progbits,_ZN9rocsolver6v33100L22stebz_synthesis_kernelIdPdEEv15rocblas_erange_15rocblas_eorder_iiiT0_iiPiS6_PT_lS6_lS6_liS6_S8_S8_S8_S8_S6_S7_,comdat
	.globl	_ZN9rocsolver6v33100L22stebz_synthesis_kernelIdPdEEv15rocblas_erange_15rocblas_eorder_iiiT0_iiPiS6_PT_lS6_lS6_liS6_S8_S8_S8_S8_S6_S7_ ; -- Begin function _ZN9rocsolver6v33100L22stebz_synthesis_kernelIdPdEEv15rocblas_erange_15rocblas_eorder_iiiT0_iiPiS6_PT_lS6_lS6_liS6_S8_S8_S8_S8_S6_S7_
	.p2align	8
	.type	_ZN9rocsolver6v33100L22stebz_synthesis_kernelIdPdEEv15rocblas_erange_15rocblas_eorder_iiiT0_iiPiS6_PT_lS6_lS6_liS6_S8_S8_S8_S8_S6_S7_,@function
_ZN9rocsolver6v33100L22stebz_synthesis_kernelIdPdEEv15rocblas_erange_15rocblas_eorder_iiiT0_iiPiS6_PT_lS6_lS6_liS6_S8_S8_S8_S8_S6_S7_: ; @_ZN9rocsolver6v33100L22stebz_synthesis_kernelIdPdEEv15rocblas_erange_15rocblas_eorder_iiiT0_iiPiS6_PT_lS6_lS6_liS6_S8_S8_S8_S8_S6_S7_
; %bb.0:
	s_load_dword s0, s[4:5], 0xb4
	s_load_dword s1, s[4:5], 0x68
	s_waitcnt lgkmcnt(0)
	s_and_b32 s0, s0, 0xffff
	s_mul_i32 s6, s6, s0
	v_add_u32_e32 v4, s6, v0
	v_cmp_gt_i32_e32 vcc, s1, v4
	s_and_saveexec_b64 s[0:1], vcc
	s_cbranch_execz .LBB18_58
; %bb.1:
	s_load_dwordx16 s[8:23], s[4:5], 0x28
	v_ashrrev_i32_e32 v5, 31, v4
	v_lshlrev_b64 v[0:1], 2, v[4:5]
	s_waitcnt lgkmcnt(0)
	v_mov_b32_e32 v3, s11
	v_add_co_u32_e32 v2, vcc, s10, v0
	v_addc_co_u32_e32 v3, vcc, v3, v1, vcc
	global_load_dword v26, v[2:3], off
	v_mul_lo_u32 v11, v4, s15
	v_mul_lo_u32 v12, v5, s14
	v_mad_u64_u32 v[2:3], s[0:1], v4, s14, 0
	v_add3_u32 v3, v3, v11, v12
	v_mul_lo_u32 v13, v4, s19
	v_mul_lo_u32 v15, v5, s18
	v_mad_u64_u32 v[6:7], s[0:1], v4, s18, 0
	v_lshlrev_b64 v[2:3], 3, v[2:3]
	s_load_dwordx4 s[36:39], s[4:5], 0x0
	s_load_dword s33, s[4:5], 0x10
	s_load_dwordx8 s[24:31], s[4:5], 0x70
	v_mov_b32_e32 v14, s13
	v_add3_u32 v7, v7, v13, v15
	v_add_co_u32_e32 v28, vcc, s12, v2
	v_mul_lo_u32 v17, v4, s23
	v_mul_lo_u32 v18, v5, s22
	v_mad_u64_u32 v[8:9], s[0:1], v4, s22, 0
	v_lshlrev_b64 v[12:13], 2, v[6:7]
	v_addc_co_u32_e32 v29, vcc, v14, v3, vcc
	v_mov_b32_e32 v16, s17
	v_add3_u32 v9, v9, v17, v18
	v_add_co_u32_e32 v30, vcc, s16, v12
	s_waitcnt lgkmcnt(0)
	v_mul_lo_u32 v10, v4, s38
	v_lshlrev_b64 v[6:7], 2, v[8:9]
	v_addc_co_u32_e32 v31, vcc, v16, v13, vcc
	v_mov_b32_e32 v19, s21
	v_ashrrev_i32_e32 v11, 31, v10
	v_add_co_u32_e32 v20, vcc, s20, v6
	v_lshlrev_b64 v[8:9], 2, v[10:11]
	v_addc_co_u32_e32 v21, vcc, v19, v7, vcc
	v_mov_b32_e32 v22, s25
	v_add_co_u32_e32 v27, vcc, s24, v8
	v_addc_co_u32_e32 v32, vcc, v22, v9, vcc
	s_cmpk_eq_i32 s36, 0xe9
	s_waitcnt vmcnt(0)
	v_cmp_lt_i32_e32 vcc, 0, v26
	v_cmp_gt_i32_e64 s[0:1], 1, v26
	s_cbranch_scc1 .LBB18_11
; %bb.2:
	v_mov_b32_e32 v10, 0
	s_and_saveexec_b64 s[6:7], vcc
	s_cbranch_execz .LBB18_13
; %bb.3:
	v_add_co_u32_e32 v22, vcc, -4, v20
	v_addc_co_u32_e32 v23, vcc, -1, v21, vcc
	v_mov_b32_e32 v6, s13
	v_add_co_u32_e32 v24, vcc, s12, v2
	v_addc_co_u32_e32 v25, vcc, v6, v3, vcc
	v_mov_b32_e32 v6, s17
	v_add_co_u32_e32 v33, vcc, s16, v12
	s_mov_b32 s15, 0
	v_addc_co_u32_e32 v34, vcc, v6, v13, vcc
	s_mov_b64 s[10:11], 0
	v_mov_b32_e32 v10, 0
	s_mov_b32 s14, s15
	s_branch .LBB18_5
.LBB18_4:                               ;   in Loop: Header=BB18_5 Depth=1
	s_or_b64 exec, exec, s[18:19]
	s_add_i32 s14, s14, 1
	v_cmp_eq_u32_e32 vcc, s14, v26
	s_or_b64 s[10:11], vcc, s[10:11]
	s_andn2_b64 exec, exec, s[10:11]
	s_cbranch_execz .LBB18_12
.LBB18_5:                               ; =>This Loop Header: Depth=1
                                        ;     Child Loop BB18_9 Depth 2
	s_cmp_eq_u32 s14, 0
	s_mov_b64 s[2:3], 0
	v_mov_b32_e32 v14, 0
	s_cbranch_scc1 .LBB18_7
; %bb.6:                                ;   in Loop: Header=BB18_5 Depth=1
	s_lshl_b64 s[2:3], s[14:15], 2
	v_mov_b32_e32 v7, s3
	v_add_co_u32_e32 v6, vcc, s2, v22
	v_addc_co_u32_e32 v7, vcc, v23, v7, vcc
	global_load_dword v14, v[6:7], off
	s_mov_b64 s[2:3], s[14:15]
.LBB18_7:                               ;   in Loop: Header=BB18_5 Depth=1
	s_lshl_b64 s[2:3], s[2:3], 2
	v_mov_b32_e32 v7, s3
	v_add_co_u32_e32 v6, vcc, s2, v27
	v_addc_co_u32_e32 v7, vcc, v32, v7, vcc
	global_load_dword v8, v[6:7], off
	s_waitcnt vmcnt(0)
	v_cmp_lt_i32_e32 vcc, 0, v8
	s_and_saveexec_b64 s[18:19], vcc
	s_cbranch_execz .LBB18_4
; %bb.8:                                ;   in Loop: Header=BB18_5 Depth=1
	v_ashrrev_i32_e32 v15, 31, v14
	v_lshlrev_b64 v[8:9], 3, v[14:15]
	v_add_co_u32_e32 v8, vcc, v24, v8
	v_addc_co_u32_e32 v9, vcc, v25, v9, vcc
	v_lshlrev_b64 v[14:15], 2, v[14:15]
	v_add_co_u32_e32 v14, vcc, v33, v14
	v_ashrrev_i32_e32 v11, 31, v10
	v_addc_co_u32_e32 v15, vcc, v34, v15, vcc
	v_lshlrev_b64 v[16:17], 3, v[10:11]
	v_add_co_u32_e32 v16, vcc, v24, v16
	v_addc_co_u32_e32 v17, vcc, v25, v17, vcc
	v_lshlrev_b64 v[18:19], 2, v[10:11]
	v_add_co_u32_e32 v18, vcc, v33, v18
	v_addc_co_u32_e32 v19, vcc, v34, v19, vcc
	s_mov_b32 s22, 0
	s_mov_b64 s[20:21], 0
.LBB18_9:                               ;   Parent Loop BB18_5 Depth=1
                                        ; =>  This Inner Loop Header: Depth=2
	global_load_dword v11, v[14:15], off
	s_add_i32 s22, s22, 1
	s_waitcnt vmcnt(0)
	global_store_dword v[18:19], v11, off
	global_load_dword v35, v[6:7], off
	global_load_dwordx2 v[36:37], v[8:9], off
	v_add_co_u32_e32 v8, vcc, 8, v8
	v_addc_co_u32_e32 v9, vcc, 0, v9, vcc
	v_add_co_u32_e32 v14, vcc, 4, v14
	v_addc_co_u32_e32 v15, vcc, 0, v15, vcc
	v_add_u32_e32 v11, s22, v10
	s_waitcnt vmcnt(1)
	v_cmp_ge_i32_e64 s[2:3], s22, v35
	s_waitcnt vmcnt(0)
	global_store_dwordx2 v[16:17], v[36:37], off
	v_add_co_u32_e32 v16, vcc, 8, v16
	v_addc_co_u32_e32 v17, vcc, 0, v17, vcc
	v_add_co_u32_e32 v18, vcc, 4, v18
	s_or_b64 s[20:21], s[2:3], s[20:21]
	v_addc_co_u32_e32 v19, vcc, 0, v19, vcc
	s_andn2_b64 exec, exec, s[20:21]
	s_cbranch_execnz .LBB18_9
; %bb.10:                               ;   in Loop: Header=BB18_5 Depth=1
	s_or_b64 exec, exec, s[20:21]
	v_mov_b32_e32 v10, v11
	s_branch .LBB18_4
.LBB18_11:
                                        ; implicit-def: $vgpr10
	s_branch .LBB18_14
.LBB18_12:
	s_or_b64 exec, exec, s[10:11]
.LBB18_13:
	s_or_b64 exec, exec, s[6:7]
	s_cbranch_execnz .LBB18_50
.LBB18_14:
	v_lshlrev_b64 v[6:7], 3, v[4:5]
	v_mov_b32_e32 v5, s27
	v_add_co_u32_e32 v6, vcc, s26, v6
	v_addc_co_u32_e32 v7, vcc, v5, v7, vcc
	global_load_dwordx2 v[6:7], v[6:7], off
	s_load_dwordx4 s[20:23], s[4:5], 0x90
	v_lshlrev_b32_e32 v14, 1, v4
	v_mul_lo_u32 v16, v14, s38
	v_ashrrev_i32_e32 v17, 31, v16
                                        ; implicit-def: $sgpr10
                                        ; implicit-def: $sgpr6_sgpr7
	s_and_saveexec_b64 s[2:3], s[0:1]
	s_xor_b64 s[0:1], exec, s[2:3]
; %bb.15:
	s_ashr_i32 s7, s38, 31
	s_mov_b32 s6, s38
	s_mov_b32 s10, 0
                                        ; implicit-def: $vgpr26
                                        ; implicit-def: $vgpr27
                                        ; implicit-def: $vgpr32
                                        ; implicit-def: $vgpr20
                                        ; implicit-def: $vgpr21
                                        ; implicit-def: $vgpr12_vgpr13
; %bb.16:
	s_or_saveexec_b64 s[2:3], s[0:1]
	v_mov_b32_e32 v8, s10
	v_pk_mov_b32 v[18:19], s[6:7], s[6:7] op_sel:[0,1]
	v_lshlrev_b64 v[10:11], 3, v[16:17]
	v_lshlrev_b64 v[16:17], 2, v[16:17]
	s_xor_b64 exec, exec, s[2:3]
	s_cbranch_execz .LBB18_26
; %bb.17:
	v_add_co_u32_e32 v5, vcc, -4, v20
	v_addc_co_u32_e32 v15, vcc, -1, v21, vcc
	v_mov_b32_e32 v8, s13
	v_add_co_u32_e32 v33, vcc, s12, v2
	v_addc_co_u32_e32 v34, vcc, v8, v3, vcc
	v_mov_b32_e32 v8, s17
	v_add_co_u32_e32 v35, vcc, s16, v12
	v_addc_co_u32_e32 v36, vcc, v8, v13, vcc
	s_waitcnt lgkmcnt(0)
	v_mov_b32_e32 v8, s21
	v_add_co_u32_e32 v37, vcc, s20, v10
	v_addc_co_u32_e32 v38, vcc, v8, v11, vcc
	s_ashr_i32 s7, s38, 31
	s_mov_b32 s6, s38
	v_mov_b32_e32 v8, s23
	v_add_co_u32_e32 v39, vcc, s22, v16
	s_mov_b32 s19, 0
	s_lshl_b64 s[10:11], s[6:7], 3
	v_addc_co_u32_e32 v40, vcc, v8, v17, vcc
	s_mov_b64 s[14:15], 0
	v_mov_b32_e32 v8, 0
	s_mov_b32 s18, s19
	s_branch .LBB18_19
.LBB18_18:                              ;   in Loop: Header=BB18_19 Depth=1
	s_or_b64 exec, exec, s[24:25]
	s_add_i32 s18, s18, 1
	v_cmp_eq_u32_e32 vcc, s18, v26
	s_or_b64 s[14:15], vcc, s[14:15]
	s_andn2_b64 exec, exec, s[14:15]
	s_cbranch_execz .LBB18_25
.LBB18_19:                              ; =>This Loop Header: Depth=1
                                        ;     Child Loop BB18_23 Depth 2
	s_cmp_eq_u32 s18, 0
	s_mov_b64 s[0:1], 0
	v_mov_b32_e32 v20, 0
	s_cbranch_scc1 .LBB18_21
; %bb.20:                               ;   in Loop: Header=BB18_19 Depth=1
	s_lshl_b64 s[0:1], s[18:19], 2
	v_mov_b32_e32 v9, s1
	v_add_co_u32_e32 v12, vcc, s0, v5
	v_addc_co_u32_e32 v13, vcc, v15, v9, vcc
	global_load_dword v20, v[12:13], off
	s_mov_b64 s[0:1], s[18:19]
.LBB18_21:                              ;   in Loop: Header=BB18_19 Depth=1
	s_lshl_b64 s[0:1], s[0:1], 2
	v_mov_b32_e32 v9, s1
	v_add_co_u32_e32 v12, vcc, s0, v27
	v_addc_co_u32_e32 v13, vcc, v32, v9, vcc
	global_load_dword v9, v[12:13], off
	s_waitcnt vmcnt(0)
	v_cmp_lt_i32_e32 vcc, 0, v9
	s_and_saveexec_b64 s[24:25], vcc
	s_cbranch_execz .LBB18_18
; %bb.22:                               ;   in Loop: Header=BB18_19 Depth=1
	v_ashrrev_i32_e32 v21, 31, v20
	v_lshlrev_b64 v[18:19], 3, v[20:21]
	v_add_co_u32_e32 v18, vcc, v33, v18
	v_addc_co_u32_e32 v19, vcc, v34, v19, vcc
	v_lshlrev_b64 v[20:21], 2, v[20:21]
	v_add_co_u32_e32 v20, vcc, v35, v20
	v_ashrrev_i32_e32 v9, 31, v8
	v_addc_co_u32_e32 v21, vcc, v36, v21, vcc
	v_lshlrev_b64 v[22:23], 3, v[8:9]
	v_add_co_u32_e32 v22, vcc, v37, v22
	v_addc_co_u32_e32 v23, vcc, v38, v23, vcc
	v_lshlrev_b64 v[24:25], 2, v[8:9]
	v_add_co_u32_e32 v24, vcc, v39, v24
	v_addc_co_u32_e32 v25, vcc, v40, v25, vcc
	s_mov_b32 s34, 0
	s_mov_b64 s[26:27], 0
.LBB18_23:                              ;   Parent Loop BB18_19 Depth=1
                                        ; =>  This Inner Loop Header: Depth=2
	global_load_dword v9, v[20:21], off
	s_add_i32 s34, s34, 1
	s_waitcnt vmcnt(0)
	global_store_dword v[24:25], v9, off
	global_load_dword v41, v[12:13], off
	global_load_dwordx2 v[42:43], v[18:19], off
	v_add_co_u32_e32 v18, vcc, 8, v18
	v_addc_co_u32_e32 v19, vcc, 0, v19, vcc
	v_add_co_u32_e32 v20, vcc, 4, v20
	v_addc_co_u32_e32 v21, vcc, 0, v21, vcc
	v_mov_b32_e32 v9, s11
	v_add_co_u32_e32 v44, vcc, s10, v22
	v_addc_co_u32_e32 v45, vcc, v23, v9, vcc
	v_add_u32_e32 v9, s34, v8
	s_waitcnt vmcnt(0)
	global_store_dwordx2 v[22:23], v[42:43], off
	global_store_dwordx2 v[44:45], v[42:43], off
	v_add_co_u32_e32 v22, vcc, 8, v22
	v_addc_co_u32_e32 v23, vcc, 0, v23, vcc
	v_add_co_u32_e32 v24, vcc, 4, v24
	v_cmp_ge_i32_e64 s[0:1], s34, v41
	s_or_b64 s[26:27], s[0:1], s[26:27]
	v_addc_co_u32_e32 v25, vcc, 0, v25, vcc
	s_andn2_b64 exec, exec, s[26:27]
	s_cbranch_execnz .LBB18_23
; %bb.24:                               ;   in Loop: Header=BB18_19 Depth=1
	s_or_b64 exec, exec, s[26:27]
	v_mov_b32_e32 v8, v9
	s_branch .LBB18_18
.LBB18_25:
	s_or_b64 exec, exec, s[14:15]
	v_pk_mov_b32 v[18:19], s[6:7], s[6:7] op_sel:[0,1]
.LBB18_26:
	s_or_b64 exec, exec, s[2:3]
	s_waitcnt lgkmcnt(0)
	v_mov_b32_e32 v5, s21
	v_add_co_u32_e32 v9, vcc, s20, v10
	v_addc_co_u32_e32 v32, vcc, v5, v11, vcc
	v_mov_b32_e32 v5, s23
	v_add_co_u32_e32 v33, vcc, s22, v16
	v_addc_co_u32_e32 v34, vcc, v5, v17, vcc
	v_lshlrev_b64 v[16:17], 3, v[18:19]
	v_add_co_u32_e32 v12, vcc, v9, v16
	v_addc_co_u32_e32 v13, vcc, v32, v17, vcc
	s_mov_b32 s2, 1
	v_cmp_lt_i32_e32 vcc, 1, v8
	s_and_saveexec_b64 s[6:7], vcc
	s_cbranch_execz .LBB18_34
; %bb.27:
	v_lshlrev_b64 v[18:19], 2, v[18:19]
	v_add_co_u32_e32 v5, vcc, v33, v18
	v_addc_co_u32_e32 v15, vcc, v34, v19, vcc
	v_add_co_u32_e32 v26, vcc, -8, v12
	v_addc_co_u32_e32 v27, vcc, -1, v13, vcc
	v_add_co_u32_e32 v35, vcc, -4, v5
	v_addc_co_u32_e32 v36, vcc, -1, v15, vcc
	v_add_co_u32_e32 v10, vcc, v16, v10
	v_addc_co_u32_e32 v11, vcc, v17, v11, vcc
	s_cmp_lg_u64 s[22:23], 0
	v_mov_b32_e32 v16, s21
	v_add_co_u32_e32 v10, vcc, s20, v10
	v_addc_co_u32_e32 v11, vcc, v11, v16, vcc
	s_cselect_b64 s[0:1], -1, 0
	v_add_co_u32_e32 v10, vcc, 8, v10
	v_cndmask_b32_e64 v16, 0, 1, s[0:1]
	s_mov_b64 s[10:11], 0
	v_addc_co_u32_e32 v11, vcc, 0, v11, vcc
	v_cmp_ne_u32_e64 s[0:1], 1, v16
	s_branch .LBB18_29
.LBB18_28:                              ;   in Loop: Header=BB18_29 Depth=1
	s_or_b64 exec, exec, s[14:15]
	s_add_i32 s2, s2, 1
	v_cmp_eq_u32_e32 vcc, s2, v8
	s_or_b64 s[10:11], vcc, s[10:11]
	v_add_co_u32_e32 v10, vcc, 8, v10
	v_addc_co_u32_e32 v11, vcc, 0, v11, vcc
	s_andn2_b64 exec, exec, s[10:11]
	s_cbranch_execz .LBB18_34
.LBB18_29:                              ; =>This Loop Header: Depth=1
                                        ;     Child Loop BB18_30 Depth 2
	s_ashr_i32 s3, s2, 31
	s_lshl_b64 s[14:15], s[2:3], 3
	v_mov_b32_e32 v16, s15
	v_add_co_u32_e32 v18, vcc, s14, v26
	v_addc_co_u32_e32 v19, vcc, v27, v16, vcc
	global_load_dwordx2 v[20:21], v[18:19], off
	s_add_i32 s18, s2, -1
	v_mov_b32_e32 v16, s18
	s_mov_b64 s[14:15], 0
	v_pk_mov_b32 v[24:25], v[10:11], v[10:11] op_sel:[0,1]
	s_mov_b32 s19, s2
	s_waitcnt vmcnt(0)
	v_pk_mov_b32 v[22:23], v[20:21], v[20:21] op_sel:[0,1]
.LBB18_30:                              ;   Parent Loop BB18_29 Depth=1
                                        ; =>  This Inner Loop Header: Depth=2
	global_load_dwordx2 v[38:39], v[24:25], off
	v_add_co_u32_e32 v24, vcc, 8, v24
	v_mov_b32_e32 v17, s19
	s_add_i32 s19, s19, 1
	v_addc_co_u32_e32 v25, vcc, 0, v25, vcc
	v_cmp_ge_i32_e32 vcc, s19, v8
	s_or_b64 s[14:15], vcc, s[14:15]
	s_waitcnt vmcnt(0)
	v_cmp_lt_f64_e32 vcc, v[38:39], v[22:23]
	v_cndmask_b32_e32 v23, v23, v39, vcc
	v_cndmask_b32_e32 v22, v22, v38, vcc
	;; [unrolled: 1-line block ×3, first 2 shown]
	s_andn2_b64 exec, exec, s[14:15]
	s_cbranch_execnz .LBB18_30
; %bb.31:                               ;   in Loop: Header=BB18_29 Depth=1
	s_or_b64 exec, exec, s[14:15]
	v_cmp_ne_u32_e32 vcc, s18, v16
	s_and_saveexec_b64 s[14:15], vcc
	s_cbranch_execz .LBB18_28
; %bb.32:                               ;   in Loop: Header=BB18_29 Depth=1
	v_ashrrev_i32_e32 v17, 31, v16
	v_lshlrev_b64 v[24:25], 3, v[16:17]
	v_add_co_u32_e32 v24, vcc, v12, v24
	v_addc_co_u32_e32 v25, vcc, v13, v25, vcc
	s_and_b64 vcc, exec, s[0:1]
	global_store_dwordx2 v[24:25], v[20:21], off
	global_store_dwordx2 v[18:19], v[22:23], off
	s_cbranch_vccnz .LBB18_28
; %bb.33:                               ;   in Loop: Header=BB18_29 Depth=1
	s_lshl_b64 s[18:19], s[2:3], 2
	v_mov_b32_e32 v19, s19
	v_add_co_u32_e32 v18, vcc, s18, v35
	v_addc_co_u32_e32 v19, vcc, v36, v19, vcc
	v_lshlrev_b64 v[16:17], 2, v[16:17]
	v_add_co_u32_e32 v16, vcc, v5, v16
	v_addc_co_u32_e32 v17, vcc, v15, v17, vcc
	global_load_dword v20, v[18:19], off
	global_load_dword v21, v[16:17], off
	s_waitcnt vmcnt(1)
	global_store_dword v[16:17], v20, off
	s_waitcnt vmcnt(1)
	global_store_dword v[18:19], v21, off
	s_branch .LBB18_28
.LBB18_34:
	s_or_b64 exec, exec, s[6:7]
	s_mov_b32 s11, 0
	v_cmp_lt_i32_e32 vcc, 0, v8
	v_mov_b32_e32 v10, 0
	s_and_saveexec_b64 s[6:7], vcc
	s_cbranch_execz .LBB18_49
; %bb.35:
	s_load_dwordx4 s[0:3], s[4:5], 0x18
	v_ashrrev_i32_e32 v15, 31, v14
	v_add_u32_e32 v37, -1, v8
	s_waitcnt vmcnt(0)
	v_xor_b32_e32 v38, 0x80000000, v7
	s_mov_b32 s10, s11
	s_waitcnt lgkmcnt(0)
	s_ashr_i32 s5, s2, 31
	s_mov_b32 s4, s2
	v_mad_i64_i32 v[10:11], s[2:3], v4, s3, 0
	s_lshl_b64 s[2:3], s[4:5], 3
	s_add_u32 s0, s0, s2
	v_lshlrev_b64 v[10:11], 3, v[10:11]
	s_addc_u32 s1, s1, s3
	s_add_i32 s24, s38, -1
	v_mov_b32_e32 v5, s1
	v_add_co_u32_e32 v16, vcc, s0, v10
	v_mul_lo_u32 v4, v4, s24
	v_addc_co_u32_e32 v17, vcc, v5, v11, vcc
	v_ashrrev_i32_e32 v5, 31, v4
	v_lshlrev_b64 v[4:5], 3, v[4:5]
	v_mov_b32_e32 v10, s29
	v_add_co_u32_e32 v4, vcc, s28, v4
	v_addc_co_u32_e32 v5, vcc, v10, v5, vcc
	v_lshlrev_b64 v[10:11], 3, v[14:15]
	v_mov_b32_e32 v14, s31
	v_add_co_u32_e32 v35, vcc, s30, v10
	s_cmp_gt_i32 s38, 1
	v_addc_co_u32_e32 v36, vcc, v14, v11, vcc
	s_cselect_b64 s[0:1], -1, 0
	v_add_co_u32_e32 v14, vcc, 8, v16
	v_cndmask_b32_e64 v11, 0, 1, s[0:1]
	v_addc_co_u32_e32 v15, vcc, 0, v17, vcc
	s_mov_b64 s[4:5], 0
	v_mov_b32_e32 v10, 0
	v_cmp_ne_u32_e64 s[0:1], 1, v11
	s_branch .LBB18_38
.LBB18_36:                              ;   in Loop: Header=BB18_38 Depth=1
	s_or_b64 exec, exec, s[2:3]
.LBB18_37:                              ;   in Loop: Header=BB18_38 Depth=1
	s_or_b64 exec, exec, s[14:15]
	s_add_i32 s10, s10, 1
	v_cmp_eq_u32_e32 vcc, s10, v8
	s_or_b64 s[4:5], vcc, s[4:5]
	s_andn2_b64 exec, exec, s[4:5]
	s_cbranch_execz .LBB18_48
.LBB18_38:                              ; =>This Loop Header: Depth=1
                                        ;     Child Loop BB18_40 Depth 2
                                        ;     Child Loop BB18_45 Depth 2
	s_lshl_b64 s[2:3], s[10:11], 3
	v_mov_b32_e32 v11, s3
	v_add_co_u32_e32 v18, vcc, s2, v9
	v_addc_co_u32_e32 v19, vcc, v32, v11, vcc
	global_load_dwordx2 v[18:19], v[18:19], off
	s_mov_b32 s25, 0
	s_mov_b64 s[14:15], 0
	v_pk_mov_b32 v[24:25], v[12:13], v[12:13] op_sel:[0,1]
                                        ; implicit-def: $sgpr2_sgpr3
                                        ; implicit-def: $sgpr20_sgpr21
                                        ; implicit-def: $sgpr18_sgpr19
	s_branch .LBB18_40
.LBB18_39:                              ;   in Loop: Header=BB18_40 Depth=2
	s_or_b64 exec, exec, s[22:23]
	s_and_b64 s[22:23], exec, s[20:21]
	s_or_b64 s[14:15], s[22:23], s[14:15]
	s_andn2_b64 s[2:3], s[2:3], exec
	s_and_b64 s[22:23], s[18:19], exec
	v_mov_b32_e32 v11, s25
	s_or_b64 s[2:3], s[2:3], s[22:23]
	s_mov_b32 s25, s26
	s_andn2_b64 exec, exec, s[14:15]
	s_cbranch_execz .LBB18_42
.LBB18_40:                              ;   Parent Loop BB18_38 Depth=1
                                        ; =>  This Inner Loop Header: Depth=2
	global_load_dwordx2 v[20:21], v[24:25], off
	v_pk_mov_b32 v[22:23], v[24:25], v[24:25] op_sel:[0,1]
	s_or_b64 s[18:19], s[18:19], exec
	s_or_b64 s[20:21], s[20:21], exec
                                        ; implicit-def: $sgpr26
                                        ; implicit-def: $vgpr24_vgpr25
	s_waitcnt vmcnt(0)
	v_cmp_neq_f64_e32 vcc, v[18:19], v[20:21]
	s_and_saveexec_b64 s[22:23], vcc
	s_cbranch_execz .LBB18_39
; %bb.41:                               ;   in Loop: Header=BB18_40 Depth=2
	v_add_co_u32_e32 v24, vcc, 8, v22
	s_add_i32 s26, s25, 1
	v_addc_co_u32_e32 v25, vcc, 0, v23, vcc
	v_cmp_eq_u32_e32 vcc, s26, v8
	s_andn2_b64 s[20:21], s[20:21], exec
	s_and_b64 s[28:29], vcc, exec
	s_andn2_b64 s[18:19], s[18:19], exec
	s_or_b64 s[20:21], s[20:21], s[28:29]
	s_branch .LBB18_39
.LBB18_42:                              ;   in Loop: Header=BB18_38 Depth=1
	s_or_b64 exec, exec, s[14:15]
	s_and_saveexec_b64 s[14:15], s[2:3]
	s_xor_b64 s[14:15], exec, s[14:15]
	s_cbranch_execz .LBB18_37
; %bb.43:                               ;   in Loop: Header=BB18_38 Depth=1
	v_cmp_eq_u32_e32 vcc, v11, v37
	v_cndmask_b32_e32 v23, v23, v36, vcc
	v_cndmask_b32_e32 v22, v22, v35, vcc
	global_load_dwordx2 v[24:25], v[22:23], off offset:8
	global_load_dwordx2 v[26:27], v[16:17], off
	s_and_b64 vcc, exec, s[0:1]
	s_waitcnt vmcnt(1)
	v_add_f64 v[20:21], v[24:25], -v[20:21]
	v_fma_f64 v[20:21], 0.5, v[20:21], v[18:19]
	s_waitcnt vmcnt(0)
	v_add_f64 v[22:23], v[26:27], -v[20:21]
	v_cmp_le_f64_e64 s[2:3], v[22:23], v[6:7]
	v_cndmask_b32_e64 v11, 0, 1, s[2:3]
	s_cbranch_vccnz .LBB18_46
; %bb.44:                               ;   in Loop: Header=BB18_38 Depth=1
	v_cmp_gt_f64_e64 s[18:19], v[22:23], -v[6:7]
	s_and_b64 vcc, s[2:3], s[18:19]
	v_cndmask_b32_e32 v27, v23, v38, vcc
	v_cndmask_b32_e32 v26, v22, v6, vcc
	v_pk_mov_b32 v[22:23], v[14:15], v[14:15] op_sel:[0,1]
	v_pk_mov_b32 v[24:25], v[4:5], v[4:5] op_sel:[0,1]
	s_mov_b32 s18, s24
.LBB18_45:                              ;   Parent Loop BB18_38 Depth=1
                                        ; =>  This Inner Loop Header: Depth=2
	global_load_dwordx2 v[40:41], v[24:25], off
	global_load_dwordx2 v[42:43], v[22:23], off
	v_add_co_u32_e32 v24, vcc, 8, v24
	v_addc_co_u32_e32 v25, vcc, 0, v25, vcc
	v_add_co_u32_e32 v22, vcc, 8, v22
	v_addc_co_u32_e32 v23, vcc, 0, v23, vcc
	s_add_i32 s18, s18, -1
	s_waitcnt vmcnt(1)
	v_div_scale_f64 v[44:45], s[2:3], v[26:27], v[26:27], v[40:41]
	v_rcp_f64_e32 v[48:49], v[44:45]
	v_div_scale_f64 v[46:47], vcc, v[40:41], v[26:27], v[40:41]
	s_waitcnt vmcnt(0)
	v_add_f64 v[42:43], v[42:43], -v[20:21]
	v_fma_f64 v[50:51], -v[44:45], v[48:49], 1.0
	v_fmac_f64_e32 v[48:49], v[48:49], v[50:51]
	v_fma_f64 v[50:51], -v[44:45], v[48:49], 1.0
	v_fmac_f64_e32 v[48:49], v[48:49], v[50:51]
	v_mul_f64 v[50:51], v[46:47], v[48:49]
	v_fma_f64 v[44:45], -v[44:45], v[50:51], v[46:47]
	v_div_fmas_f64 v[44:45], v[44:45], v[48:49], v[50:51]
	v_div_fixup_f64 v[26:27], v[44:45], v[26:27], v[40:41]
	v_add_f64 v[26:27], v[42:43], -v[26:27]
	v_cmp_gt_f64_e64 s[20:21], v[26:27], -v[6:7]
	v_cmp_le_f64_e32 vcc, v[26:27], v[6:7]
	v_addc_co_u32_e64 v11, s[2:3], 0, v11, vcc
	s_and_b64 vcc, vcc, s[20:21]
	v_cndmask_b32_e32 v27, v27, v38, vcc
	s_cmp_lg_u32 s18, 0
	v_cndmask_b32_e32 v26, v26, v6, vcc
	s_cbranch_scc1 .LBB18_45
.LBB18_46:                              ;   in Loop: Header=BB18_38 Depth=1
	v_cmp_le_i32_e32 vcc, s39, v11
	v_cmp_ge_i32_e64 s[2:3], s33, v11
	s_and_b64 s[18:19], vcc, s[2:3]
	s_and_saveexec_b64 s[2:3], s[18:19]
	s_cbranch_execz .LBB18_36
; %bb.47:                               ;   in Loop: Header=BB18_38 Depth=1
	s_lshl_b64 s[18:19], s[10:11], 2
	v_mov_b32_e32 v11, s19
	v_add_co_u32_e32 v20, vcc, s18, v33
	v_addc_co_u32_e32 v21, vcc, v34, v11, vcc
	global_load_dword v24, v[20:21], off
	v_ashrrev_i32_e32 v11, 31, v10
	v_lshlrev_b64 v[20:21], 3, v[10:11]
	v_add_co_u32_e32 v20, vcc, v28, v20
	v_addc_co_u32_e32 v21, vcc, v29, v21, vcc
	v_lshlrev_b64 v[22:23], 2, v[10:11]
	v_add_co_u32_e32 v22, vcc, v30, v22
	v_add_u32_e32 v10, 1, v10
	v_addc_co_u32_e32 v23, vcc, v31, v23, vcc
	global_store_dwordx2 v[20:21], v[18:19], off
	s_waitcnt vmcnt(1)
	global_store_dword v[22:23], v24, off
	s_branch .LBB18_36
.LBB18_48:
	s_or_b64 exec, exec, s[4:5]
.LBB18_49:
	s_or_b64 exec, exec, s[6:7]
.LBB18_50:
	v_mov_b32_e32 v4, s9
	v_add_co_u32_e32 v0, vcc, s8, v0
	v_addc_co_u32_e32 v1, vcc, v4, v1, vcc
	s_cmpk_eq_i32 s37, 0xf2
	s_cselect_b64 s[0:1], -1, 0
	v_cmp_lt_i32_e32 vcc, 1, v10
	s_mov_b32 s2, 1
	s_and_b64 s[0:1], s[0:1], vcc
	global_store_dword v[0:1], v10, off
	s_and_b64 exec, exec, s[0:1]
	s_cbranch_execz .LBB18_58
; %bb.51:
	v_add_co_u32_e32 v11, vcc, -8, v28
	v_addc_co_u32_e32 v14, vcc, -1, v29, vcc
	v_add_co_u32_e32 v15, vcc, -4, v30
	v_addc_co_u32_e32 v16, vcc, -1, v31, vcc
	v_mov_b32_e32 v0, s13
	v_add_co_u32_e32 v1, vcc, s12, v2
	s_cmp_lg_u64 s[16:17], 0
	v_addc_co_u32_e32 v2, vcc, v3, v0, vcc
	v_add_co_u32_e32 v0, vcc, 8, v1
	s_cselect_b64 s[0:1], -1, 0
	v_addc_co_u32_e32 v1, vcc, 0, v2, vcc
	v_cndmask_b32_e64 v2, 0, 1, s[0:1]
	s_mov_b64 s[4:5], 0
	v_cmp_ne_u32_e64 s[0:1], 1, v2
	s_branch .LBB18_53
.LBB18_52:                              ;   in Loop: Header=BB18_53 Depth=1
	s_or_b64 exec, exec, s[6:7]
	s_add_i32 s2, s2, 1
	v_cmp_eq_u32_e32 vcc, s2, v10
	s_or_b64 s[4:5], vcc, s[4:5]
	v_add_co_u32_e32 v0, vcc, 8, v0
	v_addc_co_u32_e32 v1, vcc, 0, v1, vcc
	s_andn2_b64 exec, exec, s[4:5]
	s_cbranch_execz .LBB18_58
.LBB18_53:                              ; =>This Loop Header: Depth=1
                                        ;     Child Loop BB18_54 Depth 2
	s_ashr_i32 s3, s2, 31
	s_lshl_b64 s[6:7], s[2:3], 3
	v_mov_b32_e32 v2, s7
	v_add_co_u32_e32 v4, vcc, s6, v11
	v_addc_co_u32_e32 v5, vcc, v14, v2, vcc
	global_load_dwordx2 v[6:7], v[4:5], off
	s_add_i32 s8, s2, -1
	v_mov_b32_e32 v2, s8
	s_mov_b64 s[6:7], 0
	v_pk_mov_b32 v[12:13], v[0:1], v[0:1] op_sel:[0,1]
	s_mov_b32 s9, s2
	s_waitcnt vmcnt(0)
	v_pk_mov_b32 v[8:9], v[6:7], v[6:7] op_sel:[0,1]
.LBB18_54:                              ;   Parent Loop BB18_53 Depth=1
                                        ; =>  This Inner Loop Header: Depth=2
	global_load_dwordx2 v[18:19], v[12:13], off
	v_add_co_u32_e32 v12, vcc, 8, v12
	v_mov_b32_e32 v3, s9
	s_add_i32 s9, s9, 1
	v_addc_co_u32_e32 v13, vcc, 0, v13, vcc
	v_cmp_ge_i32_e32 vcc, s9, v10
	s_or_b64 s[6:7], vcc, s[6:7]
	s_waitcnt vmcnt(0)
	v_cmp_lt_f64_e32 vcc, v[18:19], v[8:9]
	v_cndmask_b32_e32 v9, v9, v19, vcc
	v_cndmask_b32_e32 v8, v8, v18, vcc
	;; [unrolled: 1-line block ×3, first 2 shown]
	s_andn2_b64 exec, exec, s[6:7]
	s_cbranch_execnz .LBB18_54
; %bb.55:                               ;   in Loop: Header=BB18_53 Depth=1
	s_or_b64 exec, exec, s[6:7]
	v_cmp_ne_u32_e32 vcc, s8, v2
	s_and_saveexec_b64 s[6:7], vcc
	s_cbranch_execz .LBB18_52
; %bb.56:                               ;   in Loop: Header=BB18_53 Depth=1
	v_ashrrev_i32_e32 v3, 31, v2
	v_lshlrev_b64 v[12:13], 3, v[2:3]
	v_add_co_u32_e32 v12, vcc, v28, v12
	v_addc_co_u32_e32 v13, vcc, v29, v13, vcc
	s_and_b64 vcc, exec, s[0:1]
	global_store_dwordx2 v[12:13], v[6:7], off
	global_store_dwordx2 v[4:5], v[8:9], off
	s_cbranch_vccnz .LBB18_52
; %bb.57:                               ;   in Loop: Header=BB18_53 Depth=1
	s_lshl_b64 s[8:9], s[2:3], 2
	v_mov_b32_e32 v5, s9
	v_add_co_u32_e32 v4, vcc, s8, v15
	v_addc_co_u32_e32 v5, vcc, v16, v5, vcc
	v_lshlrev_b64 v[2:3], 2, v[2:3]
	v_add_co_u32_e32 v2, vcc, v30, v2
	v_addc_co_u32_e32 v3, vcc, v31, v3, vcc
	global_load_dword v6, v[4:5], off
	global_load_dword v7, v[2:3], off
	s_waitcnt vmcnt(1)
	global_store_dword v[2:3], v6, off
	s_waitcnt vmcnt(1)
	global_store_dword v[4:5], v7, off
	s_branch .LBB18_52
.LBB18_58:
	s_endpgm
	.section	.rodata,"a",@progbits
	.p2align	6, 0x0
	.amdhsa_kernel _ZN9rocsolver6v33100L22stebz_synthesis_kernelIdPdEEv15rocblas_erange_15rocblas_eorder_iiiT0_iiPiS6_PT_lS6_lS6_liS6_S8_S8_S8_S8_S6_S7_
		.amdhsa_group_segment_fixed_size 0
		.amdhsa_private_segment_fixed_size 0
		.amdhsa_kernarg_size 424
		.amdhsa_user_sgpr_count 6
		.amdhsa_user_sgpr_private_segment_buffer 1
		.amdhsa_user_sgpr_dispatch_ptr 0
		.amdhsa_user_sgpr_queue_ptr 0
		.amdhsa_user_sgpr_kernarg_segment_ptr 1
		.amdhsa_user_sgpr_dispatch_id 0
		.amdhsa_user_sgpr_flat_scratch_init 0
		.amdhsa_user_sgpr_kernarg_preload_length 0
		.amdhsa_user_sgpr_kernarg_preload_offset 0
		.amdhsa_user_sgpr_private_segment_size 0
		.amdhsa_uses_dynamic_stack 0
		.amdhsa_system_sgpr_private_segment_wavefront_offset 0
		.amdhsa_system_sgpr_workgroup_id_x 1
		.amdhsa_system_sgpr_workgroup_id_y 0
		.amdhsa_system_sgpr_workgroup_id_z 0
		.amdhsa_system_sgpr_workgroup_info 0
		.amdhsa_system_vgpr_workitem_id 0
		.amdhsa_next_free_vgpr 52
		.amdhsa_next_free_sgpr 40
		.amdhsa_accum_offset 52
		.amdhsa_reserve_vcc 1
		.amdhsa_reserve_flat_scratch 0
		.amdhsa_float_round_mode_32 0
		.amdhsa_float_round_mode_16_64 0
		.amdhsa_float_denorm_mode_32 3
		.amdhsa_float_denorm_mode_16_64 3
		.amdhsa_dx10_clamp 1
		.amdhsa_ieee_mode 1
		.amdhsa_fp16_overflow 0
		.amdhsa_tg_split 0
		.amdhsa_exception_fp_ieee_invalid_op 0
		.amdhsa_exception_fp_denorm_src 0
		.amdhsa_exception_fp_ieee_div_zero 0
		.amdhsa_exception_fp_ieee_overflow 0
		.amdhsa_exception_fp_ieee_underflow 0
		.amdhsa_exception_fp_ieee_inexact 0
		.amdhsa_exception_int_div_zero 0
	.end_amdhsa_kernel
	.section	.text._ZN9rocsolver6v33100L22stebz_synthesis_kernelIdPdEEv15rocblas_erange_15rocblas_eorder_iiiT0_iiPiS6_PT_lS6_lS6_liS6_S8_S8_S8_S8_S6_S7_,"axG",@progbits,_ZN9rocsolver6v33100L22stebz_synthesis_kernelIdPdEEv15rocblas_erange_15rocblas_eorder_iiiT0_iiPiS6_PT_lS6_lS6_liS6_S8_S8_S8_S8_S6_S7_,comdat
.Lfunc_end18:
	.size	_ZN9rocsolver6v33100L22stebz_synthesis_kernelIdPdEEv15rocblas_erange_15rocblas_eorder_iiiT0_iiPiS6_PT_lS6_lS6_liS6_S8_S8_S8_S8_S6_S7_, .Lfunc_end18-_ZN9rocsolver6v33100L22stebz_synthesis_kernelIdPdEEv15rocblas_erange_15rocblas_eorder_iiiT0_iiPiS6_PT_lS6_lS6_liS6_S8_S8_S8_S8_S6_S7_
                                        ; -- End function
	.section	.AMDGPU.csdata,"",@progbits
; Kernel info:
; codeLenInByte = 2960
; NumSgprs: 44
; NumVgprs: 52
; NumAgprs: 0
; TotalNumVgprs: 52
; ScratchSize: 0
; MemoryBound: 0
; FloatMode: 240
; IeeeMode: 1
; LDSByteSize: 0 bytes/workgroup (compile time only)
; SGPRBlocks: 5
; VGPRBlocks: 6
; NumSGPRsForWavesPerEU: 44
; NumVGPRsForWavesPerEU: 52
; AccumOffset: 52
; Occupancy: 8
; WaveLimiterHint : 1
; COMPUTE_PGM_RSRC2:SCRATCH_EN: 0
; COMPUTE_PGM_RSRC2:USER_SGPR: 6
; COMPUTE_PGM_RSRC2:TRAP_HANDLER: 0
; COMPUTE_PGM_RSRC2:TGID_X_EN: 1
; COMPUTE_PGM_RSRC2:TGID_Y_EN: 0
; COMPUTE_PGM_RSRC2:TGID_Z_EN: 0
; COMPUTE_PGM_RSRC2:TIDIG_COMP_CNT: 0
; COMPUTE_PGM_RSRC3_GFX90A:ACCUM_OFFSET: 12
; COMPUTE_PGM_RSRC3_GFX90A:TG_SPLIT: 0
	.section	.text._ZN9rocsolver6v33100L15bdsvdx_abs_eigsIdEEviPiPT_lS4_,"axG",@progbits,_ZN9rocsolver6v33100L15bdsvdx_abs_eigsIdEEviPiPT_lS4_,comdat
	.globl	_ZN9rocsolver6v33100L15bdsvdx_abs_eigsIdEEviPiPT_lS4_ ; -- Begin function _ZN9rocsolver6v33100L15bdsvdx_abs_eigsIdEEviPiPT_lS4_
	.p2align	8
	.type	_ZN9rocsolver6v33100L15bdsvdx_abs_eigsIdEEviPiPT_lS4_,@function
_ZN9rocsolver6v33100L15bdsvdx_abs_eigsIdEEviPiPT_lS4_: ; @_ZN9rocsolver6v33100L15bdsvdx_abs_eigsIdEEviPiPT_lS4_
; %bb.0:
	s_mov_b32 s0, s7
	s_load_dwordx8 s[8:15], s[4:5], 0x8
	s_load_dword s7, s[4:5], 0x0
	s_ashr_i32 s1, s0, 31
	s_lshl_b64 s[2:3], s[0:1], 2
	s_waitcnt lgkmcnt(0)
	s_add_u32 s2, s8, s2
	s_addc_u32 s3, s9, s3
	s_load_dword s9, s[2:3], 0x0
	s_load_dword s8, s[4:5], 0x34
	s_waitcnt lgkmcnt(0)
	s_cmp_le_i32 s9, s7
	s_cbranch_scc1 .LBB19_2
; %bb.1:
	v_mov_b32_e32 v1, 0
	v_mov_b32_e32 v2, s7
	s_mov_b32 s9, s7
	global_store_dword v1, v2, s[2:3]
.LBB19_2:
	s_and_b32 s2, 0xffff, s8
	s_mul_i32 s6, s6, s2
	v_add_u32_e32 v0, s6, v0
	v_cmp_gt_i32_e32 vcc, s9, v0
	s_and_saveexec_b64 s[2:3], vcc
	s_cbranch_execz .LBB19_4
; %bb.3:
	s_mul_i32 s2, s0, s13
	s_mul_hi_u32 s3, s0, s12
	s_add_i32 s2, s3, s2
	s_mul_i32 s1, s1, s12
	s_add_i32 s3, s2, s1
	s_mul_i32 s2, s0, s12
	s_lshl_b64 s[2:3], s[2:3], 3
	s_add_u32 s2, s10, s2
	s_mul_i32 s0, s0, s7
	s_addc_u32 s3, s11, s3
	s_lshl_b32 s0, s0, 1
	s_ashr_i32 s1, s0, 31
	s_lshl_b64 s[0:1], s[0:1], 3
	s_add_u32 s0, s14, s0
	v_ashrrev_i32_e32 v1, 31, v0
	s_addc_u32 s1, s15, s1
	v_lshlrev_b64 v[0:1], 3, v[0:1]
	v_mov_b32_e32 v3, s1
	v_add_co_u32_e32 v2, vcc, s0, v0
	v_addc_co_u32_e32 v3, vcc, v3, v1, vcc
	global_load_dwordx2 v[2:3], v[2:3], off
	v_mov_b32_e32 v4, s3
	v_add_co_u32_e32 v0, vcc, s2, v0
	v_addc_co_u32_e32 v1, vcc, v4, v1, vcc
	s_waitcnt vmcnt(0)
	v_xor_b32_e32 v3, 0x80000000, v3
	global_store_dwordx2 v[0:1], v[2:3], off
.LBB19_4:
	s_endpgm
	.section	.rodata,"a",@progbits
	.p2align	6, 0x0
	.amdhsa_kernel _ZN9rocsolver6v33100L15bdsvdx_abs_eigsIdEEviPiPT_lS4_
		.amdhsa_group_segment_fixed_size 0
		.amdhsa_private_segment_fixed_size 0
		.amdhsa_kernarg_size 296
		.amdhsa_user_sgpr_count 6
		.amdhsa_user_sgpr_private_segment_buffer 1
		.amdhsa_user_sgpr_dispatch_ptr 0
		.amdhsa_user_sgpr_queue_ptr 0
		.amdhsa_user_sgpr_kernarg_segment_ptr 1
		.amdhsa_user_sgpr_dispatch_id 0
		.amdhsa_user_sgpr_flat_scratch_init 0
		.amdhsa_user_sgpr_kernarg_preload_length 0
		.amdhsa_user_sgpr_kernarg_preload_offset 0
		.amdhsa_user_sgpr_private_segment_size 0
		.amdhsa_uses_dynamic_stack 0
		.amdhsa_system_sgpr_private_segment_wavefront_offset 0
		.amdhsa_system_sgpr_workgroup_id_x 1
		.amdhsa_system_sgpr_workgroup_id_y 1
		.amdhsa_system_sgpr_workgroup_id_z 0
		.amdhsa_system_sgpr_workgroup_info 0
		.amdhsa_system_vgpr_workitem_id 0
		.amdhsa_next_free_vgpr 5
		.amdhsa_next_free_sgpr 16
		.amdhsa_accum_offset 8
		.amdhsa_reserve_vcc 1
		.amdhsa_reserve_flat_scratch 0
		.amdhsa_float_round_mode_32 0
		.amdhsa_float_round_mode_16_64 0
		.amdhsa_float_denorm_mode_32 3
		.amdhsa_float_denorm_mode_16_64 3
		.amdhsa_dx10_clamp 1
		.amdhsa_ieee_mode 1
		.amdhsa_fp16_overflow 0
		.amdhsa_tg_split 0
		.amdhsa_exception_fp_ieee_invalid_op 0
		.amdhsa_exception_fp_denorm_src 0
		.amdhsa_exception_fp_ieee_div_zero 0
		.amdhsa_exception_fp_ieee_overflow 0
		.amdhsa_exception_fp_ieee_underflow 0
		.amdhsa_exception_fp_ieee_inexact 0
		.amdhsa_exception_int_div_zero 0
	.end_amdhsa_kernel
	.section	.text._ZN9rocsolver6v33100L15bdsvdx_abs_eigsIdEEviPiPT_lS4_,"axG",@progbits,_ZN9rocsolver6v33100L15bdsvdx_abs_eigsIdEEviPiPT_lS4_,comdat
.Lfunc_end19:
	.size	_ZN9rocsolver6v33100L15bdsvdx_abs_eigsIdEEviPiPT_lS4_, .Lfunc_end19-_ZN9rocsolver6v33100L15bdsvdx_abs_eigsIdEEviPiPT_lS4_
                                        ; -- End function
	.section	.AMDGPU.csdata,"",@progbits
; Kernel info:
; codeLenInByte = 244
; NumSgprs: 20
; NumVgprs: 5
; NumAgprs: 0
; TotalNumVgprs: 5
; ScratchSize: 0
; MemoryBound: 0
; FloatMode: 240
; IeeeMode: 1
; LDSByteSize: 0 bytes/workgroup (compile time only)
; SGPRBlocks: 2
; VGPRBlocks: 0
; NumSGPRsForWavesPerEU: 20
; NumVGPRsForWavesPerEU: 5
; AccumOffset: 8
; Occupancy: 8
; WaveLimiterHint : 0
; COMPUTE_PGM_RSRC2:SCRATCH_EN: 0
; COMPUTE_PGM_RSRC2:USER_SGPR: 6
; COMPUTE_PGM_RSRC2:TRAP_HANDLER: 0
; COMPUTE_PGM_RSRC2:TGID_X_EN: 1
; COMPUTE_PGM_RSRC2:TGID_Y_EN: 1
; COMPUTE_PGM_RSRC2:TGID_Z_EN: 0
; COMPUTE_PGM_RSRC2:TIDIG_COMP_CNT: 0
; COMPUTE_PGM_RSRC3_GFX90A:ACCUM_OFFSET: 1
; COMPUTE_PGM_RSRC3_GFX90A:TG_SPLIT: 0
	.section	.text._ZN9rocsolver6v33100L12stein_kernelIddPdEEviPT0_lS4_lPiS4_lS5_lS5_lT1_iilS5_lS5_S4_S5_S3_S3_,"axG",@progbits,_ZN9rocsolver6v33100L12stein_kernelIddPdEEviPT0_lS4_lPiS4_lS5_lS5_lT1_iilS5_lS5_S4_S5_S3_S3_,comdat
	.globl	_ZN9rocsolver6v33100L12stein_kernelIddPdEEviPT0_lS4_lPiS4_lS5_lS5_lT1_iilS5_lS5_S4_S5_S3_S3_ ; -- Begin function _ZN9rocsolver6v33100L12stein_kernelIddPdEEviPT0_lS4_lPiS4_lS5_lS5_lT1_iilS5_lS5_S4_S5_S3_S3_
	.p2align	8
	.type	_ZN9rocsolver6v33100L12stein_kernelIddPdEEviPT0_lS4_lPiS4_lS5_lS5_lT1_iilS5_lS5_S4_S5_S3_S3_,@function
_ZN9rocsolver6v33100L12stein_kernelIddPdEEviPT0_lS4_lPiS4_lS5_lS5_lT1_iilS5_lS5_S4_S5_S3_S3_: ; @_ZN9rocsolver6v33100L12stein_kernelIddPdEEviPT0_lS4_lPiS4_lS5_lS5_lT1_iilS5_lS5_S4_S5_S3_S3_
; %bb.0:
	s_load_dwordx16 s[36:51], s[4:5], 0x8
	s_mov_b32 s8, s7
	s_ashr_i32 s9, s7, 31
	s_lshl_b64 s[2:3], s[8:9], 2
	s_waitcnt lgkmcnt(0)
	s_add_u32 s0, s44, s2
	s_addc_u32 s1, s45, s3
	s_load_dword s60, s[0:1], 0x0
	s_waitcnt lgkmcnt(0)
	s_cmp_lt_i32 s60, 1
	s_cbranch_scc1 .LBB20_249
; %bb.1:
	s_load_dwordx16 s[12:27], s[4:5], 0x70
                                        ; implicit-def: $vgpr64 : SGPR spill to VGPR lane
	s_mov_b64 s[28:29], 0
	v_writelane_b32 v64, s2, 0
	v_writelane_b32 v64, s3, 1
	s_waitcnt lgkmcnt(0)
	s_cmp_eq_u64 s[14:15], 0
	s_cbranch_scc1 .LBB20_3
; %bb.2:
	s_mul_i32 s0, s8, s17
	s_mul_hi_u32 s1, s8, s16
	s_add_i32 s0, s1, s0
	s_mul_i32 s1, s9, s16
	s_add_i32 s1, s0, s1
	s_mul_i32 s0, s8, s16
	s_lshl_b64 s[0:1], s[0:1], 2
	s_add_u32 s28, s14, s0
	s_addc_u32 s29, s15, s1
.LBB20_3:
	v_cmp_eq_u32_e64 s[0:1], 0, v0
	s_and_saveexec_b64 s[2:3], s[0:1]
	s_cbranch_execz .LBB20_5
; %bb.4:
	v_mov_b32_e32 v1, 0
	ds_write_b32 v1, v1
.LBB20_5:
	s_or_b64 exec, exec, s[2:3]
	s_cmp_lg_u64 s[28:29], 0
	s_cselect_b64 s[6:7], -1, 0
	v_cmp_gt_u32_e32 vcc, s60, v0
	s_and_b64 s[2:3], vcc, s[6:7]
	s_and_saveexec_b64 s[10:11], s[2:3]
	s_cbranch_execz .LBB20_13
; %bb.6:
	v_or_b32_e32 v1, 0x100, v0
	v_max_i32_e32 v2, s60, v1
	v_xad_u32 v3, v0, -1, v2
	s_movk_i32 s2, 0x2ff
	v_cmp_lt_u32_e32 vcc, s2, v3
	s_mov_b64 s[2:3], -1
	v_mov_b32_e32 v2, v0
	s_and_saveexec_b64 s[14:15], vcc
	s_cbranch_execz .LBB20_10
; %bb.7:
	v_lshrrev_b32_e32 v2, 8, v3
	v_add_u32_e32 v6, 1, v2
	v_and_b32_e32 v7, 0x1fffffc, v6
	s_mov_b64 s[16:17], 0
	v_mov_b32_e32 v8, s29
	v_mov_b32_e32 v3, 0
	;; [unrolled: 1-line block ×3, first 2 shown]
	v_pk_mov_b32 v[4:5], v[0:1], v[0:1] op_sel:[0,1]
.LBB20_8:                               ; =>This Inner Loop Header: Depth=1
	v_mov_b32_e32 v2, v4
	v_lshlrev_b64 v[14:15], 2, v[2:3]
	v_add_u32_e32 v12, 0x200, v4
	v_mov_b32_e32 v13, v3
	v_add_co_u32_e64 v14, s[2:3], s28, v14
	v_lshlrev_b64 v[12:13], 2, v[12:13]
	v_addc_co_u32_e64 v15, s[2:3], v8, v15, s[2:3]
	v_add_u32_e32 v10, 0x200, v5
	v_mov_b32_e32 v11, v3
	v_add_u32_e32 v9, -4, v9
	v_mov_b32_e32 v2, v5
	v_add_co_u32_e64 v12, s[2:3], s28, v12
	v_lshlrev_b64 v[10:11], 2, v[10:11]
	v_cmp_eq_u32_e32 vcc, 0, v9
	v_lshlrev_b64 v[16:17], 2, v[2:3]
	v_addc_co_u32_e64 v13, s[2:3], v8, v13, s[2:3]
	v_add_u32_e32 v4, 0x400, v4
	v_add_u32_e32 v5, 0x400, v5
	v_add_co_u32_e64 v10, s[2:3], s28, v10
	s_or_b64 s[16:17], vcc, s[16:17]
	v_add_co_u32_e32 v16, vcc, s28, v16
	v_addc_co_u32_e64 v11, s[2:3], v8, v11, s[2:3]
	v_addc_co_u32_e32 v17, vcc, v8, v17, vcc
	flat_store_dword v[14:15], v3
	flat_store_dword v[16:17], v3
	;; [unrolled: 1-line block ×4, first 2 shown]
	s_andn2_b64 exec, exec, s[16:17]
	s_cbranch_execnz .LBB20_8
; %bb.9:
	s_or_b64 exec, exec, s[16:17]
	v_cmp_ne_u32_e32 vcc, v6, v7
	v_lshl_or_b32 v2, v7, 8, v0
	s_orn2_b64 s[2:3], vcc, exec
.LBB20_10:
	s_or_b64 exec, exec, s[14:15]
	s_and_b64 exec, exec, s[2:3]
	s_cbranch_execz .LBB20_13
; %bb.11:
	v_mov_b32_e32 v3, 0
	v_lshlrev_b64 v[4:5], 2, v[2:3]
	v_mov_b32_e32 v1, s29
	v_add_co_u32_e32 v4, vcc, s28, v4
	v_addc_co_u32_e32 v5, vcc, v1, v5, vcc
	s_mov_b64 s[14:15], 0
.LBB20_12:                              ; =>This Inner Loop Header: Depth=1
	v_add_u32_e32 v2, 0x100, v2
	flat_store_dword v[4:5], v3
	v_add_co_u32_e32 v4, vcc, 0x400, v4
	v_cmp_le_i32_e64 s[2:3], s60, v2
	s_or_b64 s[14:15], s[2:3], s[14:15]
	v_addc_co_u32_e32 v5, vcc, 0, v5, vcc
	s_andn2_b64 exec, exec, s[14:15]
	s_cbranch_execnz .LBB20_12
.LBB20_13:
	v_writelane_b32 v64, s28, 2
	v_writelane_b32 v64, s29, 3
	s_or_b64 exec, exec, s[10:11]
	s_load_dwordx8 s[52:59], s[4:5], 0x48
	s_mov_b32 s17, 0
	s_mov_b32 s61, s17
	v_mov_b32_e32 v6, 0
	s_waitcnt lgkmcnt(0)
	s_mul_i32 s3, s8, s53
	s_mul_hi_u32 s10, s8, s52
	s_mul_i32 s11, s9, s52
	s_add_i32 s3, s10, s3
	s_mul_i32 s2, s8, s52
	s_add_i32 s3, s3, s11
	s_lshl_b64 s[2:3], s[2:3], 2
	s_add_u32 s33, s50, s2
	s_addc_u32 s28, s51, s3
	s_lshl_b64 s[2:3], s[60:61], 2
	s_add_u32 s2, s33, s2
	s_addc_u32 s3, s28, s3
	v_writelane_b32 v64, s2, 4
	v_writelane_b32 v64, s3, 5
	s_nop 3
	global_load_dword v4, v6, s[2:3] offset:-4
	s_waitcnt vmcnt(0)
	v_cmp_gt_i32_e32 vcc, 1, v4
	s_cbranch_vccnz .LBB20_247
; %bb.14:
	s_load_dword s50, s[4:5], 0x0
	s_load_dwordx2 s[52:53], s[4:5], 0x68
	s_mul_i32 s2, s8, s39
	s_mul_hi_u32 s3, s8, s38
	s_add_i32 s2, s3, s2
	s_mul_i32 s3, s9, s38
	s_add_i32 s3, s2, s3
	s_mul_i32 s2, s8, s38
	s_waitcnt lgkmcnt(0)
	s_ashr_i32 s51, s50, 31
	s_lshl_b64 s[2:3], s[2:3], 3
	s_add_u32 s38, s36, s2
	s_addc_u32 s39, s37, s3
	s_mul_i32 s2, s8, s43
	s_mul_hi_u32 s3, s8, s42
	s_add_i32 s2, s3, s2
	s_mul_i32 s3, s9, s42
	s_add_i32 s3, s2, s3
	s_mul_i32 s2, s8, s42
	s_lshl_b64 s[2:3], s[2:3], 3
	s_add_u32 s42, s40, s2
	s_addc_u32 s43, s41, s3
	s_mul_i32 s2, s8, s49
	s_mul_hi_u32 s3, s8, s48
	s_add_i32 s2, s3, s2
	s_mul_i32 s3, s9, s48
	s_add_i32 s3, s2, s3
	s_mul_i32 s2, s8, s48
	;; [unrolled: 9-line block ×3, first 2 shown]
	s_lshl_b64 s[2:3], s[2:3], 2
	s_mul_i32 s4, s50, 5
	s_add_u32 s44, s54, s2
	s_addc_u32 s89, s55, s3
	s_mul_hi_i32 s3, s4, s8
	s_mul_i32 s2, s4, s8
	s_lshl_b64 s[10:11], s[2:3], 3
	s_add_u32 s36, s20, s10
	s_mul_hi_i32 s5, s50, s8
	s_mul_i32 s4, s50, s8
	s_addc_u32 s37, s21, s11
	s_lshl_b64 s[4:5], s[4:5], 2
	s_add_u32 s74, s22, s4
	s_mul_i32 s13, s8, s13
	s_mul_hi_u32 s14, s8, s12
	s_addc_u32 s75, s23, s5
	s_add_i32 s13, s14, s13
	s_mul_i32 s9, s9, s12
	s_add_i32 s9, s13, s9
	s_mul_i32 s8, s8, s12
	s_ashr_i32 s5, s52, 31
	s_lshl_b64 s[8:9], s[8:9], 3
	s_mov_b32 s4, s52
	s_add_u32 s8, s58, s8
	s_addc_u32 s9, s59, s9
	s_lshl_b64 s[4:5], s[4:5], 3
	s_add_u32 s52, s8, s4
	s_mul_i32 s22, s50, 3
	s_addc_u32 s56, s9, s5
	s_ashr_i32 s23, s22, 31
	s_lshl_b64 s[12:13], s[22:23], 3
	s_add_u32 s40, s36, s12
	s_addc_u32 s41, s37, s13
	s_lshl_b64 s[4:5], s[50:51], 4
	s_sub_u32 s14, s40, s4
	s_subb_u32 s15, s41, s5
	s_lshl_b64 s[8:9], s[50:51], 3
	s_add_u32 s46, s14, s8
	v_writelane_b32 v64, s14, 6
	s_addc_u32 s47, s15, s9
	s_add_u32 s48, s46, s4
	v_writelane_b32 v64, s15, 7
	s_addc_u32 s49, s47, s5
	s_add_i32 s14, 8, 0x1000
	s_mul_i32 s16, s50, 0xffffffe8
	s_mul_hi_i32 s15, s50, 0xffffffe8
	s_add_u32 s16, s48, s16
	s_addc_u32 s15, s49, s15
	s_add_u32 s54, s16, 8
	s_addc_u32 s55, s15, 0
	s_and_b64 s[6:7], s[0:1], s[6:7]
	v_writelane_b32 v64, s6, 8
	v_writelane_b32 v64, s7, 9
	s_add_u32 s6, s44, -4
	v_writelane_b32 v64, s6, 10
	s_addc_u32 s6, s89, -1
	s_add_u32 s16, s38, -8
	s_addc_u32 s45, s39, -1
	v_writelane_b32 v64, s6, 11
	s_add_u32 s6, s42, -16
	v_writelane_b32 v64, s6, 12
	s_addc_u32 s6, s43, -1
	v_writelane_b32 v64, s6, 13
	s_add_u32 s6, s36, -8
	v_writelane_b32 v64, s6, 14
	s_addc_u32 s6, s37, -1
	v_writelane_b32 v64, s6, 15
	s_add_u32 s6, s42, 8
	v_writelane_b32 v64, s6, 16
	s_addc_u32 s6, s43, 0
	v_writelane_b32 v64, s6, 17
	s_add_u32 s6, s38, 8
	v_writelane_b32 v64, s6, 18
	s_addc_u32 s6, s39, 0
	s_add_u32 s10, s10, s12
	s_addc_u32 s11, s11, s13
	s_add_u32 s12, s10, s20
	s_addc_u32 s13, s11, s21
	s_lshl_b32 s57, s50, 1
	v_writelane_b32 v64, s6, 19
	s_sub_u32 s6, s10, s4
	s_subb_u32 s7, s11, s5
	v_writelane_b32 v64, s6, 20
	v_writelane_b32 v64, s7, 21
	s_add_u32 s2, s2, s22
	v_writelane_b32 v64, s22, 22
	s_addc_u32 s3, s3, s23
	s_add_u32 s6, s2, s50
	s_addc_u32 s7, s3, s51
	v_writelane_b32 v64, s23, 23
	s_lshl_b64 s[6:7], s[6:7], 3
	v_writelane_b32 v64, s6, 24
	s_lshl_b64 s[2:3], s[2:3], 3
	v_writelane_b32 v64, s7, 25
	s_sub_u32 s6, s2, s8
	s_subb_u32 s7, s3, s9
	v_writelane_b32 v64, s6, 26
	v_writelane_b32 v64, s7, 27
	s_add_u32 s6, s10, 8
	s_addc_u32 s7, s11, 0
	v_writelane_b32 v64, s6, 28
	v_writelane_b32 v64, s7, 29
	v_div_scale_f64 v[2:3], s[6:7], s[26:27], s[26:27], 1.0
	v_rcp_f64_e32 v[8:9], v[2:3]
	v_lshlrev_b32_e32 v5, 3, v0
	v_mov_b32_e32 v1, s37
	s_add_u32 s66, s12, 16
	v_fma_f64 v[10:11], -v[2:3], v[8:9], 1.0
	v_fmac_f64_e32 v[8:9], v[8:9], v[10:11]
	v_fma_f64 v[10:11], -v[2:3], v[8:9], 1.0
	v_fmac_f64_e32 v[8:9], v[8:9], v[10:11]
	v_div_scale_f64 v[10:11], vcc, 1.0, s[26:27], 1.0
	v_mul_f64 v[12:13], v[10:11], v[8:9]
	v_fma_f64 v[2:3], -v[2:3], v[12:13], v[10:11]
	v_writelane_b32 v64, s39, 30
	s_nop 0
	v_div_fmas_f64 v[2:3], v[2:3], v[8:9], v[12:13]
	v_add_co_u32_e32 v8, vcc, s36, v5
	v_addc_co_u32_e32 v9, vcc, 0, v1, vcc
	v_add_u32_e32 v12, s50, v0
	s_addc_u32 s67, s13, 0
	v_mov_b32_e32 v1, s13
	v_add_co_u32_e32 v10, vcc, s12, v5
	v_ashrrev_i32_e32 v13, 31, v12
	v_writelane_b32 v64, s38, 31
	s_sub_u32 s2, s2, s4
	v_addc_co_u32_e32 v11, vcc, 0, v1, vcc
	v_lshlrev_b64 v[12:13], 3, v[12:13]
	v_writelane_b32 v64, s43, 32
	s_subb_u32 s3, s3, s5
	v_mov_b32_e32 v1, s37
	v_add_co_u32_e32 v7, vcc, s36, v12
	v_writelane_b32 v64, s42, 33
	v_addc_co_u32_e32 v1, vcc, v1, v13, vcc
	s_add_u32 s2, s2, s20
	v_writelane_b32 v64, s44, 34
	v_add_co_u32_e32 v12, vcc, 8, v7
	s_addc_u32 s3, s3, s21
	v_writelane_b32 v64, s16, 35
	v_addc_co_u32_e32 v13, vcc, 0, v1, vcc
	v_lshlrev_b32_e32 v1, 2, v0
	s_add_u32 s68, s2, 16
	v_max_f64 v[14:15], s[24:25], s[24:25]
	v_add_u32_e32 v49, 8, v5
	s_movk_i32 s2, 0x80
	v_cmp_gt_i32_e64 s[62:63], s50, v0
	s_mov_b32 s76, 0xff800000
	v_writelane_b32 v64, s45, 36
	v_add_u32_e32 v48, s14, v1
	s_addc_u32 s69, s3, 0
	v_max_f64 v[14:15], v[14:15], 0
	v_sub_u32_e32 v50, v49, v1
	v_div_fixup_f64 v[16:17], v[2:3], s[26:27], 1.0
	v_mov_b32_e32 v51, 0x260
	v_mov_b32_e32 v52, 1
	;; [unrolled: 1-line block ×4, first 2 shown]
	v_cmp_gt_u32_e64 s[2:3], s2, v0
	s_brev_b32 s51, -2
	s_mov_b32 s78, 0x5e4789c9
	s_mov_b32 s79, 0xbc8f
	s_movk_i32 s34, 0xf2b9
	s_mov_b32 s35, 0x4f7a09cd
	s_mov_b32 s31, 0x9ef4
	s_movk_i32 s29, 0xf131
	s_movk_i32 s6, 0x800
	s_mov_b32 s30, 0
	v_cmp_gt_u32_e64 s[4:5], 64, v0
	s_mov_b32 s77, 0x41dfffff
	s_mov_b32 s80, s17
	v_writelane_b32 v64, s62, 37
                                        ; implicit-def: $vgpr18_vgpr19
                                        ; implicit-def: $vgpr24_vgpr25
                                        ; implicit-def: $vgpr22_vgpr23
                                        ; implicit-def: $vgpr20_vgpr21
                                        ; implicit-def: $sgpr7
	v_writelane_b32 v64, s63, 38
	s_branch .LBB20_17
.LBB20_15:                              ;   in Loop: Header=BB20_17 Depth=1
	v_readlane_b32 s8, v64, 4
	v_readlane_b32 s9, v64, 5
	s_mov_b32 s30, s14
	v_readlane_b32 s38, v64, 31
	v_readlane_b32 s39, v64, 30
	;; [unrolled: 1-line block ×4, first 2 shown]
	global_load_dword v4, v6, s[8:9] offset:-4
	v_readlane_b32 s44, v64, 34
	v_readlane_b32 s16, v64, 35
	;; [unrolled: 1-line block ×3, first 2 shown]
.LBB20_16:                              ;   in Loop: Header=BB20_17 Depth=1
	s_add_i32 s80, s80, 1
	s_waitcnt vmcnt(0)
	v_cmp_ge_i32_e32 vcc, s80, v4
	s_cbranch_vccnz .LBB20_247
.LBB20_17:                              ; =>This Loop Header: Depth=1
                                        ;     Child Loop BB20_22 Depth 2
                                        ;     Child Loop BB20_27 Depth 2
                                        ;       Child Loop BB20_38 Depth 3
                                        ;       Child Loop BB20_41 Depth 3
	;; [unrolled: 1-line block ×5, first 2 shown]
                                        ;         Child Loop BB20_110 Depth 4
                                        ;         Child Loop BB20_113 Depth 4
	;; [unrolled: 1-line block ×4, first 2 shown]
                                        ;           Child Loop BB20_130 Depth 5
                                        ;         Child Loop BB20_142 Depth 4
                                        ;           Child Loop BB20_143 Depth 5
                                        ;           Child Loop BB20_145 Depth 5
                                        ;         Child Loop BB20_150 Depth 4
                                        ;       Child Loop BB20_191 Depth 3
                                        ;       Child Loop BB20_228 Depth 3
	;; [unrolled: 1-line block ×4, first 2 shown]
	s_mov_b32 s82, 0
	s_cmp_eq_u32 s80, 0
	s_mov_b64 s[8:9], 0
	s_cbranch_scc1 .LBB20_19
; %bb.18:                               ;   in Loop: Header=BB20_17 Depth=1
	s_mov_b32 s81, s17
	s_lshl_b64 s[8:9], s[80:81], 2
	v_readlane_b32 s10, v64, 10
	s_add_u32 s8, s10, s8
	v_readlane_b32 s10, v64, 11
	s_addc_u32 s9, s10, s9
	global_load_dword v2, v6, s[8:9]
	s_mov_b64 s[8:9], s[80:81]
	s_waitcnt vmcnt(0)
	v_readfirstlane_b32 s82, v2
.LBB20_19:                              ;   in Loop: Header=BB20_17 Depth=1
	s_lshl_b64 s[8:9], s[8:9], 2
	s_add_u32 s8, s44, s8
	s_addc_u32 s9, s89, s9
	global_load_dword v2, v6, s[8:9]
	s_not_b32 s8, s82
	s_waitcnt vmcnt(0)
	v_readfirstlane_b32 s84, v2
	s_add_i32 s86, s8, s84
	s_cmp_lt_i32 s86, 1
	s_cselect_b64 s[64:65], -1, 0
	v_subrev_u32_e32 v55, s82, v2
	s_and_b64 vcc, exec, s[64:65]
	s_cbranch_vccnz .LBB20_24
; %bb.20:                               ;   in Loop: Header=BB20_17 Depth=1
	s_ashr_i32 s83, s82, 31
	s_lshl_b64 s[10:11], s[82:83], 3
	s_add_u32 s8, s38, s10
	s_addc_u32 s9, s39, s11
	s_add_u32 s12, s42, s10
	s_addc_u32 s13, s43, s11
	s_ashr_i32 s85, s84, 31
	s_lshl_b64 s[14:15], s[84:85], 3
	s_add_u32 s22, s16, s14
	s_addc_u32 s23, s45, s15
	s_add_i32 s7, s84, -2
	v_readlane_b32 s58, v64, 12
	s_add_u32 s14, s58, s14
	v_readlane_b32 s58, v64, 13
	s_addc_u32 s15, s58, s15
	global_load_dwordx2 v[20:21], v6, s[8:9]
	global_load_dwordx2 v[2:3], v6, s[12:13]
	;; [unrolled: 1-line block ×4, first 2 shown]
	s_cmp_ge_i32 s82, s7
	s_waitcnt vmcnt(2)
	v_add_f64 v[20:21], |v[20:21]|, |v[2:3]|
	s_waitcnt vmcnt(0)
	v_add_f64 v[22:23], |v[22:23]|, |v[24:25]|
	v_cmp_lt_f64_e32 vcc, v[20:21], v[22:23]
	v_cndmask_b32_e32 v21, v21, v23, vcc
	v_cndmask_b32_e32 v20, v20, v22, vcc
	s_cbranch_scc1 .LBB20_23
; %bb.21:                               ;   in Loop: Header=BB20_17 Depth=1
	v_readlane_b32 s8, v64, 16
	s_add_u32 s8, s8, s10
	v_readlane_b32 s9, v64, 17
	s_addc_u32 s9, s9, s11
	v_readlane_b32 s12, v64, 18
	s_add_u32 s10, s12, s10
	v_readlane_b32 s12, v64, 19
	s_addc_u32 s11, s12, s11
	s_mov_b32 s12, s82
.LBB20_22:                              ;   Parent Loop BB20_17 Depth=1
                                        ; =>  This Inner Loop Header: Depth=2
	global_load_dwordx2 v[22:23], v6, s[10:11]
	s_add_i32 s12, s12, 1
	s_waitcnt vmcnt(0)
	v_add_f64 v[22:23], |v[2:3]|, |v[22:23]|
	global_load_dwordx2 v[2:3], v6, s[8:9]
	s_add_u32 s8, s8, 8
	s_addc_u32 s9, s9, 0
	s_add_u32 s10, s10, 8
	s_addc_u32 s11, s11, 0
	s_cmp_lt_i32 s12, s7
	s_waitcnt vmcnt(0)
	v_add_f64 v[22:23], v[22:23], |v[2:3]|
	v_cmp_lt_f64_e32 vcc, v[20:21], v[22:23]
	v_cndmask_b32_e32 v21, v21, v23, vcc
	v_cndmask_b32_e32 v20, v20, v22, vcc
	s_cbranch_scc1 .LBB20_22
.LBB20_23:                              ;   in Loop: Header=BB20_17 Depth=1
	s_mov_b32 s10, 0x9999999a
	v_cvt_f64_u32_e32 v[2:3], v55
	s_mov_b32 s11, 0x3fb99999
	v_div_scale_f64 v[22:23], s[8:9], v[2:3], v[2:3], s[10:11]
	v_rcp_f64_e32 v[24:25], v[22:23]
	v_div_scale_f64 v[26:27], vcc, s[10:11], v[2:3], s[10:11]
	s_mov_b32 s8, 0
	v_fma_f64 v[28:29], -v[22:23], v[24:25], 1.0
	v_fmac_f64_e32 v[24:25], v[24:25], v[28:29]
	v_fma_f64 v[28:29], -v[22:23], v[24:25], 1.0
	v_fmac_f64_e32 v[24:25], v[24:25], v[28:29]
	v_mul_f64 v[28:29], v[26:27], v[24:25]
	v_fma_f64 v[22:23], -v[22:23], v[28:29], v[26:27]
	v_div_fmas_f64 v[22:23], v[22:23], v[24:25], v[28:29]
	v_div_fixup_f64 v[2:3], v[22:23], v[2:3], s[10:11]
	s_brev_b32 s9, 8
	v_cmp_gt_f64_e32 vcc, s[8:9], v[2:3]
	v_cndmask_b32_e64 v5, 0, 1, vcc
	v_lshlrev_b32_e32 v5, 8, v5
	v_ldexp_f64 v[2:3], v[2:3], v5
	v_rsq_f64_e32 v[24:25], v[2:3]
	s_mov_b32 s8, 0xd2f1a9fc
	s_mov_b32 s9, 0x3f50624d
	v_mul_f64 v[22:23], v[20:21], s[8:9]
	v_mul_f64 v[26:27], v[2:3], v[24:25]
	v_mul_f64 v[24:25], v[24:25], 0.5
	v_fma_f64 v[28:29], -v[24:25], v[26:27], 0.5
	v_fmac_f64_e32 v[26:27], v[26:27], v[28:29]
	v_fma_f64 v[30:31], -v[26:27], v[26:27], v[2:3]
	v_fmac_f64_e32 v[24:25], v[24:25], v[28:29]
	v_fmac_f64_e32 v[26:27], v[30:31], v[24:25]
	v_fma_f64 v[28:29], -v[26:27], v[26:27], v[2:3]
	s_and_b64 s[8:9], vcc, exec
	v_fmac_f64_e32 v[26:27], v[28:29], v[24:25]
	s_cselect_b32 s7, 0xffffff80, 0
	v_ldexp_f64 v[24:25], v[26:27], s7
	v_cmp_class_f64_e32 vcc, v[2:3], v51
	v_cndmask_b32_e32 v25, v25, v3, vcc
	v_cndmask_b32_e32 v24, v24, v2, vcc
	s_mov_b32 s7, s30
.LBB20_24:                              ;   in Loop: Header=BB20_17 Depth=1
	s_cmp_ge_i32 s30, s60
	s_cbranch_scc1 .LBB20_16
; %bb.25:                               ;   in Loop: Header=BB20_17 Depth=1
	s_mul_i32 s8, s80, s60
	v_writelane_b32 v64, s8, 39
	v_cmp_gt_i32_e64 s[10:11], s86, v0
	s_ashr_i32 s85, s84, 31
	v_writelane_b32 v64, s10, 40
	s_lshl_b64 s[12:13], s[84:85], 3
	v_writelane_b32 v64, s11, 41
	s_add_u32 s10, s16, s12
	s_addc_u32 s11, s45, s13
	v_writelane_b32 v64, s10, 42
	v_writelane_b32 v64, s11, 43
	v_readlane_b32 s10, v64, 22
	s_add_i32 s12, s86, s10
	s_ashr_i32 s13, s12, 31
	s_lshl_b64 s[12:13], s[12:13], 3
	s_add_u32 s92, s36, s12
	s_mov_b32 s87, s17
	s_addc_u32 s93, s37, s13
	s_lshl_b64 s[12:13], s[86:87], 2
	v_cvt_f64_u32_e32 v[2:3], v55
	s_add_u32 s94, s74, s12
	v_mul_f64 v[26:27], v[20:21], v[2:3]
	v_add_u32_e32 v2, s82, v0
	s_addc_u32 s95, s75, s13
	s_add_i32 s85, s86, -1
	s_lshl_b64 s[12:13], s[86:87], 3
	v_ashrrev_i32_e32 v3, 31, v2
	v_readlane_b32 s11, v64, 23
	s_add_u32 s10, s40, s12
	v_lshlrev_b64 v[2:3], 3, v[2:3]
	s_addc_u32 s11, s41, s13
	v_mov_b32_e32 v4, s39
	v_add_co_u32_e32 v28, vcc, s38, v2
	s_cmp_lg_u32 s86, 1
	v_addc_co_u32_e32 v29, vcc, v4, v3, vcc
	s_cselect_b64 s[70:71], -1, 0
	v_mov_b32_e32 v4, s43
	v_add_co_u32_e32 v30, vcc, s42, v2
	s_ashr_i32 s83, s82, 31
	v_writelane_b32 v64, s10, 44
	v_addc_co_u32_e32 v31, vcc, v4, v3, vcc
	s_lshl_b64 s[12:13], s[82:83], 3
	v_writelane_b32 v64, s11, 45
	v_mov_b32_e32 v2, s13
	v_subrev_co_u32_e32 v32, vcc, s12, v8
	v_cmp_ge_i32_e64 s[8:9], s86, v0
	s_sub_i32 s87, s84, s82
	v_subb_co_u32_e32 v33, vcc, v9, v2, vcc
	s_mul_i32 s83, s53, s30
	s_mov_b32 s81, 0
	v_pk_mov_b32 v[2:3], v[18:19], v[18:19] op_sel:[0,1]
	s_mov_b32 s44, s30
	v_writelane_b32 v64, s64, 46
	v_writelane_b32 v64, s65, 47
	s_branch .LBB20_27
.LBB20_26:                              ;   in Loop: Header=BB20_27 Depth=2
	s_or_b64 exec, exec, s[14:15]
	s_add_i32 s81, s81, 1
	s_add_i32 s44, s44, 1
	;; [unrolled: 1-line block ×3, first 2 shown]
	s_cmp_ge_i32 s44, s60
	s_cselect_b64 s[12:13], -1, 0
	s_mov_b32 s14, s30
	s_waitcnt vmcnt(0)
	v_pk_mov_b32 v[2:3], v[18:19], v[18:19] op_sel:[0,1]
	s_barrier
	s_and_b64 vcc, exec, s[12:13]
	s_cbranch_vccnz .LBB20_15
.LBB20_27:                              ;   Parent Loop BB20_17 Depth=1
                                        ; =>  This Loop Header: Depth=2
                                        ;       Child Loop BB20_38 Depth 3
                                        ;       Child Loop BB20_41 Depth 3
	;; [unrolled: 1-line block ×5, first 2 shown]
                                        ;         Child Loop BB20_110 Depth 4
                                        ;         Child Loop BB20_113 Depth 4
	;; [unrolled: 1-line block ×4, first 2 shown]
                                        ;           Child Loop BB20_130 Depth 5
                                        ;         Child Loop BB20_142 Depth 4
                                        ;           Child Loop BB20_143 Depth 5
                                        ;           Child Loop BB20_145 Depth 5
                                        ;         Child Loop BB20_150 Depth 4
                                        ;       Child Loop BB20_191 Depth 3
                                        ;       Child Loop BB20_228 Depth 3
	;; [unrolled: 1-line block ×4, first 2 shown]
	s_ashr_i32 s45, s44, 31
	s_lshl_b64 s[12:13], s[44:45], 2
	s_add_u32 s12, s33, s12
	s_addc_u32 s13, s28, s13
	global_load_dword v4, v6, s[12:13]
	s_waitcnt vmcnt(0)
	v_add_u32_e32 v4, -1, v4
	v_cmp_ne_u32_e32 vcc, s80, v4
	s_cbranch_vccnz .LBB20_32
; %bb.28:                               ;   in Loop: Header=BB20_27 Depth=2
	s_lshl_b64 s[12:13], s[44:45], 3
	s_add_u32 s12, s61, s12
	s_addc_u32 s13, s88, s13
	global_load_dwordx2 v[18:19], v6, s[12:13]
	s_and_b64 vcc, exec, s[64:65]
	s_cbranch_vccz .LBB20_33
; %bb.29:                               ;   in Loop: Header=BB20_27 Depth=2
	s_and_saveexec_b64 s[12:13], s[0:1]
	s_cbranch_execz .LBB20_31
; %bb.30:                               ;   in Loop: Header=BB20_27 Depth=2
	v_mov_b32_e32 v7, v53
	global_store_dwordx2 v6, v[6:7], s[36:37]
.LBB20_31:                              ;   in Loop: Header=BB20_27 Depth=2
	s_or_b64 exec, exec, s[12:13]
	s_barrier
	s_branch .LBB20_242
.LBB20_32:                              ;   in Loop: Header=BB20_27 Depth=2
                                        ; implicit-def: $sgpr81
                                        ; implicit-def: $sgpr83
	s_mov_b32 s14, s44
	v_pk_mov_b32 v[18:19], v[2:3], v[2:3] op_sel:[0,1]
	s_cbranch_execz .LBB20_27
	s_branch .LBB20_15
.LBB20_33:                              ;   in Loop: Header=BB20_27 Depth=2
	s_cbranch_execz .LBB20_242
; %bb.34:                               ;   in Loop: Header=BB20_27 Depth=2
	v_readlane_b32 s10, v64, 39
	s_add_i32 s12, s44, s10
	v_lshl_or_b32 v4, s12, 8, v0
	v_add_u32_e32 v5, 1, v4
	s_mov_b32 s10, 0x40000001
	v_mul_hi_i32 v7, v5, s10
	v_lshrrev_b32_e32 v34, 31, v7
	v_ashrrev_i32_e32 v7, 29, v7
	v_add_u32_e32 v7, v7, v34
	v_mul_lo_u32 v7, v7, s51
	v_sub_u32_e32 v5, v5, v7
	v_max_i32_e32 v7, 1, v5
	s_mov_b32 s10, 0x7ffffffe
	v_cmp_ne_u32_e32 vcc, s10, v4
	v_mov_b32_e32 v34, v7
	s_and_saveexec_b64 s[12:13], vcc
; %bb.35:                               ;   in Loop: Header=BB20_27 Depth=2
	v_sub_u32_e32 v4, 0x7ffffffe, v4
	s_mov_b32 s10, 0x4000007d
	v_mul_hi_i32 v5, v4, s10
	v_lshrrev_b32_e32 v34, 31, v5
	v_ashrrev_i32_e32 v5, 29, v5
	v_add_u32_e32 v5, v5, v34
	s_mov_b32 s10, 0x7fffff07
	v_mul_lo_u32 v5, v5, s10
	v_sub_u32_e32 v4, v4, v5
	v_max_i32_e32 v34, 1, v4
; %bb.36:                               ;   in Loop: Header=BB20_27 Depth=2
	s_or_b64 exec, exec, s[12:13]
	s_and_saveexec_b64 s[12:13], s[8:9]
	s_cbranch_execz .LBB20_39
; %bb.37:                               ;   in Loop: Header=BB20_27 Depth=2
	s_mov_b64 s[14:15], 0
	v_pk_mov_b32 v[4:5], v[8:9], v[8:9] op_sel:[0,1]
	v_mov_b32_e32 v35, v0
.LBB20_38:                              ;   Parent Loop BB20_17 Depth=1
                                        ;     Parent Loop BB20_27 Depth=2
                                        ; =>    This Inner Loop Header: Depth=3
	v_mul_hi_i32 v36, v7, s78
	v_mul_hi_i32 v37, v34, s35
	v_lshrrev_b32_e32 v38, 31, v36
	v_ashrrev_i32_e32 v36, 14, v36
	v_lshrrev_b32_e32 v39, 31, v37
	v_ashrrev_i32_e32 v37, 14, v37
	v_add_u32_e32 v36, v36, v38
	v_add_u32_e32 v37, v37, v39
	v_mul_i32_i24_e32 v38, 0xadc8, v36
	v_mul_i32_i24_e32 v39, 0xce26, v37
	v_sub_u32_e32 v7, v7, v38
	v_sub_u32_e32 v34, v34, v39
	v_mul_lo_u32 v7, v7, s79
	v_mul_lo_u32 v34, v34, s31
	v_mad_i32_i24 v7, v36, s34, v7
	v_mad_i32_i24 v34, v37, s29, v34
	v_ashrrev_i32_e32 v36, 31, v7
	v_ashrrev_i32_e32 v37, 31, v34
	v_and_b32_e32 v36, 0x7fffffff, v36
	v_and_b32_e32 v37, 0x7fffff07, v37
	v_add_u32_e32 v7, v36, v7
	v_add_u32_e32 v34, v37, v34
	v_sub_u32_e32 v36, v7, v34
	v_ashrrev_i32_e32 v37, 31, v36
	v_and_b32_e32 v37, 0x7fffffff, v37
	v_add_u32_e32 v36, v37, v36
	v_cvt_f64_i32_e32 v[36:37], v36
	v_div_scale_f64 v[38:39], s[22:23], s[76:77], s[76:77], v[36:37]
	v_rcp_f64_e32 v[42:43], v[38:39]
	v_add_u32_e32 v35, 0x100, v35
	v_cmp_lt_i32_e32 vcc, s86, v35
	s_or_b64 s[14:15], vcc, s[14:15]
	v_fma_f64 v[44:45], -v[38:39], v[42:43], 1.0
	v_fmac_f64_e32 v[42:43], v[42:43], v[44:45]
	v_fma_f64 v[44:45], -v[38:39], v[42:43], 1.0
	v_div_scale_f64 v[40:41], vcc, v[36:37], s[76:77], v[36:37]
	v_fmac_f64_e32 v[42:43], v[42:43], v[44:45]
	v_mul_f64 v[44:45], v[40:41], v[42:43]
	v_fma_f64 v[38:39], -v[38:39], v[44:45], v[40:41]
	s_nop 0
	v_div_fmas_f64 v[38:39], v[38:39], v[42:43], v[44:45]
	v_div_fixup_f64 v[36:37], v[38:39], s[76:77], v[36:37]
	global_store_dwordx2 v[4:5], v[36:37], off
	v_add_co_u32_e32 v4, vcc, 0x800, v4
	v_addc_co_u32_e32 v5, vcc, 0, v5, vcc
	s_andn2_b64 exec, exec, s[14:15]
	s_cbranch_execnz .LBB20_38
.LBB20_39:                              ;   in Loop: Header=BB20_27 Depth=2
	s_or_b64 exec, exec, s[12:13]
	v_readlane_b32 s10, v64, 40
	v_readlane_b32 s11, v64, 41
	s_and_saveexec_b64 s[22:23], s[10:11]
	s_cbranch_execz .LBB20_42
; %bb.40:                               ;   in Loop: Header=BB20_27 Depth=2
	s_mov_b64 s[38:39], 0
	v_pk_mov_b32 v[4:5], v[30:31], v[30:31] op_sel:[0,1]
	v_pk_mov_b32 v[34:35], v[28:29], v[28:29] op_sel:[0,1]
	;; [unrolled: 1-line block ×4, first 2 shown]
	v_mov_b32_e32 v7, v0
.LBB20_41:                              ;   Parent Loop BB20_17 Depth=1
                                        ;     Parent Loop BB20_27 Depth=2
                                        ; =>    This Inner Loop Header: Depth=3
	global_load_dwordx2 v[40:41], v[34:35], off
	v_add_u32_e32 v42, s57, v7
	v_add_u32_e32 v7, 0x100, v7
	v_ashrrev_i32_e32 v43, 31, v42
	v_cmp_le_i32_e32 vcc, s86, v7
	v_lshlrev_b64 v[42:43], 3, v[42:43]
	v_mov_b32_e32 v44, s37
	s_or_b64 s[38:39], vcc, s[38:39]
	v_add_co_u32_e32 v42, vcc, s36, v42
	v_addc_co_u32_e32 v43, vcc, v44, v43, vcc
	s_waitcnt vmcnt(0)
	global_store_dwordx2 v[38:39], v[40:41], off
	global_load_dwordx2 v[40:41], v[4:5], off
	v_add_co_u32_e32 v38, vcc, s6, v38
	v_addc_co_u32_e32 v39, vcc, 0, v39, vcc
	s_waitcnt vmcnt(0)
	global_store_dwordx2 v[42:43], v[40:41], off
	global_store_dwordx2 v[36:37], v[40:41], off
	v_add_co_u32_e32 v36, vcc, s6, v36
	s_mov_b64 s[12:13], vcc
	v_add_co_u32_e32 v34, vcc, 0x800, v34
	s_mov_b64 s[14:15], vcc
	v_addc_co_u32_e64 v37, vcc, 0, v37, s[12:13]
	v_add_co_u32_e32 v4, vcc, 0x800, v4
	v_addc_co_u32_e64 v35, s[12:13], 0, v35, s[14:15]
	v_addc_co_u32_e32 v5, vcc, 0, v5, vcc
	s_andn2_b64 exec, exec, s[38:39]
	s_cbranch_execnz .LBB20_41
.LBB20_42:                              ;   in Loop: Header=BB20_27 Depth=2
	s_or_b64 exec, exec, s[22:23]
	s_and_saveexec_b64 s[12:13], s[0:1]
	s_cbranch_execz .LBB20_44
; %bb.43:                               ;   in Loop: Header=BB20_27 Depth=2
	v_readlane_b32 s10, v64, 42
	v_readlane_b32 s11, v64, 43
	s_nop 4
	global_load_dwordx2 v[4:5], v6, s[10:11]
	s_waitcnt vmcnt(0)
	global_store_dwordx2 v6, v[4:5], s[92:93]
.LBB20_44:                              ;   in Loop: Header=BB20_27 Depth=2
	s_mov_b32 s11, s61
	s_mov_b32 s10, s60
	s_or_b64 exec, exec, s[12:13]
	s_mov_b32 s12, 0
	s_waitcnt vmcnt(0)
	v_mul_f64 v[4:5], v[18:19], s[24:25]
	s_mov_b32 s13, 0x40240000
	s_cmp_lg_u32 s81, 0
	v_mul_f64 v[34:35], |v[4:5]|, s[12:13]
	v_add_f64 v[36:37], v[18:19], -v[2:3]
	s_cselect_b64 s[38:39], -1, 0
	v_fma_f64 v[4:5], |v[4:5]|, s[12:13], v[2:3]
	v_cmp_lt_f64_e32 vcc, v[36:37], v[34:35]
	s_cmp_eq_u32 s81, 0
	v_cndmask_b32_e32 v4, v18, v4, vcc
	v_cndmask_b32_e32 v5, v19, v5, vcc
	s_cselect_b64 vcc, -1, 0
	v_cndmask_b32_e32 v19, v5, v19, vcc
	v_cndmask_b32_e32 v18, v4, v18, vcc
	s_barrier
	s_and_saveexec_b64 s[12:13], s[0:1]
	s_cbranch_execz .LBB20_71
; %bb.45:                               ;   in Loop: Header=BB20_27 Depth=2
	global_load_dwordx2 v[4:5], v6, s[40:41]
	v_readlane_b32 s14, v64, 6
	v_readlane_b32 s15, v64, 7
	;; [unrolled: 1-line block ×5, first 2 shown]
	s_mov_b32 s16, 1
	v_readlane_b32 s73, v64, 27
	s_mov_b64 s[22:23], s[74:75]
	v_readlane_b32 s61, v64, 25
	v_readlane_b32 s59, v64, 21
	global_store_dword v6, v6, s[94:95]
	s_waitcnt vmcnt(1)
	v_add_f64 v[4:5], v[4:5], -v[18:19]
	global_store_dwordx2 v6, v[4:5], s[40:41]
	global_load_dwordx2 v[34:35], v6, s[14:15] offset:8
	v_readlane_b32 s14, v64, 28
	v_readlane_b32 s15, v64, 29
	s_waitcnt vmcnt(0)
	v_add_f64 v[4:5], |v[4:5]|, |v[34:35]|
	s_branch .LBB20_47
.LBB20_46:                              ;   in Loop: Header=BB20_47 Depth=3
	s_add_u32 s58, s58, 8
	s_addc_u32 s59, s59, 0
	s_add_u32 s60, s60, 8
	s_addc_u32 s61, s61, 0
	;; [unrolled: 2-line block ×4, first 2 shown]
	s_add_i32 s16, s16, 1
	s_add_u32 s14, s14, 8
	s_addc_u32 s15, s15, 0
	s_cmp_eq_u32 s87, s16
	s_cbranch_scc1 .LBB20_68
.LBB20_47:                              ;   Parent Loop BB20_17 Depth=1
                                        ;     Parent Loop BB20_27 Depth=2
                                        ; =>    This Inner Loop Header: Depth=3
	s_add_i32 s45, s16, -1
	s_add_u32 s64, s20, s14
	s_addc_u32 s65, s21, s15
	global_load_dwordx2 v[34:35], v6, s[64:65]
	s_add_u32 s62, s20, s72
	s_addc_u32 s63, s21, s73
	s_cmp_lt_i32 s45, s85
	s_cselect_b64 s[42:43], -1, 0
	s_cmp_ge_i32 s45, s85
	s_waitcnt vmcnt(0)
	v_add_f64 v[38:39], v[34:35], -v[18:19]
	global_store_dwordx2 v6, v[38:39], s[64:65]
	global_load_dwordx2 v[40:41], v6, s[62:63]
	s_waitcnt vmcnt(0)
	v_add_f64 v[34:35], |v[38:39]|, |v[40:41]|
	s_cbranch_scc1 .LBB20_49
; %bb.48:                               ;   in Loop: Header=BB20_47 Depth=3
	s_add_u32 s90, s20, s58
	s_addc_u32 s91, s21, s59
	global_load_dwordx2 v[36:37], v6, s[90:91] offset:16
	s_waitcnt vmcnt(0)
	v_add_f64 v[34:35], v[34:35], |v[36:37]|
.LBB20_49:                              ;   in Loop: Header=BB20_47 Depth=3
	global_load_dwordx2 v[44:45], v6, s[64:65] offset:-8
	v_pk_mov_b32 v[36:37], 0, 0
	s_waitcnt vmcnt(0)
	v_cmp_eq_f64_e32 vcc, 0, v[44:45]
	s_cbranch_vccnz .LBB20_51
; %bb.50:                               ;   in Loop: Header=BB20_47 Depth=3
	v_and_b32_e32 v37, 0x7fffffff, v45
	v_mov_b32_e32 v36, v44
	v_div_scale_f64 v[42:43], s[90:91], v[4:5], v[4:5], v[36:37]
	v_rcp_f64_e32 v[46:47], v[42:43]
	v_div_scale_f64 v[36:37], vcc, v[36:37], v[4:5], v[36:37]
	v_fma_f64 v[56:57], -v[42:43], v[46:47], 1.0
	v_fmac_f64_e32 v[46:47], v[46:47], v[56:57]
	v_fma_f64 v[56:57], -v[42:43], v[46:47], 1.0
	v_fmac_f64_e32 v[46:47], v[46:47], v[56:57]
	v_mul_f64 v[56:57], v[36:37], v[46:47]
	v_fma_f64 v[36:37], -v[42:43], v[56:57], v[36:37]
	v_div_fmas_f64 v[36:37], v[36:37], v[46:47], v[56:57]
	v_div_fixup_f64 v[36:37], v[36:37], v[4:5], |v[44:45]|
.LBB20_51:                              ;   in Loop: Header=BB20_47 Depth=3
	v_cmp_neq_f64_e32 vcc, 0, v[40:41]
	s_cbranch_vccz .LBB20_56
; %bb.52:                               ;   in Loop: Header=BB20_47 Depth=3
	v_and_b32_e32 v43, 0x7fffffff, v41
	v_mov_b32_e32 v42, v40
	v_div_scale_f64 v[46:47], s[90:91], v[34:35], v[34:35], v[42:43]
	v_rcp_f64_e32 v[56:57], v[46:47]
	v_div_scale_f64 v[42:43], vcc, v[42:43], v[34:35], v[42:43]
	v_fma_f64 v[58:59], -v[46:47], v[56:57], 1.0
	v_fmac_f64_e32 v[56:57], v[56:57], v[58:59]
	v_fma_f64 v[58:59], -v[46:47], v[56:57], 1.0
	v_fmac_f64_e32 v[56:57], v[56:57], v[58:59]
	v_mul_f64 v[58:59], v[42:43], v[56:57]
	v_fma_f64 v[42:43], -v[46:47], v[58:59], v[42:43]
	v_div_fmas_f64 v[42:43], v[42:43], v[56:57], v[58:59]
	v_div_fixup_f64 v[42:43], v[42:43], v[34:35], |v[40:41]|
	v_cmp_nle_f64_e32 vcc, v[42:43], v[36:37]
	s_cbranch_vccnz .LBB20_57
; %bb.53:                               ;   in Loop: Header=BB20_47 Depth=3
	v_div_scale_f64 v[46:47], s[90:91], v[44:45], v[44:45], v[40:41]
	v_rcp_f64_e32 v[56:57], v[46:47]
	v_div_scale_f64 v[58:59], vcc, v[40:41], v[44:45], v[40:41]
	s_add_u32 s90, s20, s58
	v_fma_f64 v[60:61], -v[46:47], v[56:57], 1.0
	v_fmac_f64_e32 v[56:57], v[56:57], v[60:61]
	v_fma_f64 v[60:61], -v[46:47], v[56:57], 1.0
	v_fmac_f64_e32 v[56:57], v[56:57], v[60:61]
	v_mul_f64 v[60:61], v[58:59], v[56:57]
	v_fma_f64 v[46:47], -v[46:47], v[60:61], v[58:59]
	v_div_fmas_f64 v[46:47], v[46:47], v[56:57], v[60:61]
	v_div_fixup_f64 v[46:47], v[46:47], v[44:45], v[40:41]
	global_store_dwordx2 v6, v[46:47], s[62:63]
	s_addc_u32 s91, s21, s59
	global_load_dwordx2 v[56:57], v6, s[64:65]
	global_load_dwordx2 v[58:59], v6, s[90:91] offset:8
	s_andn2_b64 vcc, exec, s[42:43]
	global_store_dword v6, v6, s[22:23]
	s_waitcnt vmcnt(1)
	v_fma_f64 v[46:47], -v[46:47], v[58:59], v[56:57]
	global_store_dwordx2 v6, v[46:47], s[64:65]
	s_cbranch_vccnz .LBB20_55
; %bb.54:                               ;   in Loop: Header=BB20_47 Depth=3
	s_add_u32 s90, s20, s60
	s_addc_u32 s91, s21, s61
	v_mov_b32_e32 v7, v6
	global_store_dwordx2 v6, v[6:7], s[90:91]
.LBB20_55:                              ;   in Loop: Header=BB20_47 Depth=3
	v_pk_mov_b32 v[46:47], v[34:35], v[34:35] op_sel:[0,1]
	s_cbranch_execz .LBB20_58
	s_branch .LBB20_61
.LBB20_56:                              ;   in Loop: Header=BB20_47 Depth=3
                                        ; implicit-def: $vgpr42_vgpr43
                                        ; implicit-def: $vgpr4_vgpr5
	s_branch .LBB20_62
.LBB20_57:                              ;   in Loop: Header=BB20_47 Depth=3
	v_pk_mov_b32 v[46:47], v[34:35], v[34:35] op_sel:[0,1]
.LBB20_58:                              ;   in Loop: Header=BB20_47 Depth=3
	s_add_u32 s90, s20, s58
	global_store_dwordx2 v6, v[40:41], s[64:65] offset:-8
	s_addc_u32 s91, s21, s59
	global_load_dwordx2 v[46:47], v6, s[90:91] offset:8
	v_div_scale_f64 v[56:57], vcc, v[40:41], v[40:41], v[44:45]
	v_rcp_f64_e32 v[58:59], v[56:57]
	v_div_scale_f64 v[60:61], vcc, v[44:45], v[40:41], v[44:45]
	global_store_dword v6, v52, s[22:23]
	v_fma_f64 v[62:63], -v[56:57], v[58:59], 1.0
	v_fmac_f64_e32 v[58:59], v[58:59], v[62:63]
	v_fma_f64 v[62:63], -v[56:57], v[58:59], 1.0
	v_fmac_f64_e32 v[58:59], v[58:59], v[62:63]
	v_mul_f64 v[62:63], v[60:61], v[58:59]
	v_fma_f64 v[56:57], -v[56:57], v[62:63], v[60:61]
	v_div_fmas_f64 v[56:57], v[56:57], v[58:59], v[62:63]
	v_div_fixup_f64 v[40:41], v[56:57], v[40:41], v[44:45]
	s_andn2_b64 vcc, exec, s[42:43]
	s_waitcnt vmcnt(1)
	v_fma_f64 v[44:45], -v[38:39], v[40:41], v[46:47]
	global_store_dwordx2 v6, v[44:45], s[64:65]
	s_cbranch_vccnz .LBB20_60
; %bb.59:                               ;   in Loop: Header=BB20_47 Depth=3
	global_load_dwordx2 v[44:45], v6, s[90:91] offset:16
	s_add_u32 s64, s20, s60
	s_addc_u32 s65, s21, s61
	s_waitcnt vmcnt(0)
	global_store_dwordx2 v6, v[44:45], s[64:65]
	v_mul_f64 v[44:45], v[44:45], -v[40:41]
	global_store_dwordx2 v6, v[44:45], s[90:91] offset:16
.LBB20_60:                              ;   in Loop: Header=BB20_47 Depth=3
	v_pk_mov_b32 v[46:47], v[4:5], v[4:5] op_sel:[0,1]
	global_store_dwordx2 v6, v[38:39], s[90:91] offset:8
	global_store_dwordx2 v6, v[40:41], s[62:63]
.LBB20_61:                              ;   in Loop: Header=BB20_47 Depth=3
	v_pk_mov_b32 v[4:5], v[46:47], v[46:47] op_sel:[0,1]
	s_cbranch_execnz .LBB20_65
.LBB20_62:                              ;   in Loop: Header=BB20_47 Depth=3
	s_andn2_b64 vcc, exec, s[42:43]
	global_store_dword v6, v6, s[22:23]
	s_cbranch_vccnz .LBB20_64
; %bb.63:                               ;   in Loop: Header=BB20_47 Depth=3
	s_add_u32 s42, s20, s60
	s_addc_u32 s43, s21, s61
	v_mov_b32_e32 v7, v6
	global_store_dwordx2 v6, v[6:7], s[42:43]
.LBB20_64:                              ;   in Loop: Header=BB20_47 Depth=3
	v_pk_mov_b32 v[42:43], 0, 0
	v_pk_mov_b32 v[4:5], v[34:35], v[34:35] op_sel:[0,1]
.LBB20_65:                              ;   in Loop: Header=BB20_47 Depth=3
	v_max_f64 v[34:35], v[42:43], v[42:43]
	v_max_f64 v[36:37], v[36:37], v[36:37]
	;; [unrolled: 1-line block ×3, first 2 shown]
	v_cmp_nle_f64_e32 vcc, v[34:35], v[14:15]
	s_cbranch_vccnz .LBB20_46
; %bb.66:                               ;   in Loop: Header=BB20_47 Depth=3
	global_load_dword v7, v6, s[94:95]
	s_waitcnt vmcnt(0)
	v_cmp_ne_u32_e32 vcc, 0, v7
	s_cbranch_vccnz .LBB20_46
; %bb.67:                               ;   in Loop: Header=BB20_47 Depth=3
	v_mov_b32_e32 v7, s16
	global_store_dword v6, v7, s[94:95]
	s_branch .LBB20_46
.LBB20_68:                              ;   in Loop: Header=BB20_27 Depth=2
	v_readlane_b32 s14, v64, 44
	v_readlane_b32 s15, v64, 45
	v_mul_f64 v[4:5], v[14:15], v[4:5]
	s_nop 3
	global_load_dwordx2 v[34:35], v6, s[14:15]
	s_waitcnt vmcnt(0)
	v_cmp_le_f64_e64 s[14:15], |v[34:35]|, v[4:5]
	s_and_b64 vcc, exec, s[14:15]
	s_cbranch_vccz .LBB20_71
; %bb.69:                               ;   in Loop: Header=BB20_27 Depth=2
	global_load_dword v4, v6, s[94:95]
	s_waitcnt vmcnt(0)
	v_cmp_ne_u32_e32 vcc, 0, v4
	s_cbranch_vccnz .LBB20_71
; %bb.70:                               ;   in Loop: Header=BB20_27 Depth=2
	global_store_dword v6, v55, s[94:95]
.LBB20_71:                              ;   in Loop: Header=BB20_27 Depth=2
	s_or_b64 exec, exec, s[12:13]
	v_add_f64 v[2:3], v[18:19], -v[2:3]
	v_cmp_gt_f64_e64 s[72:73], |v[2:3]|, v[22:23]
	s_mov_b32 s45, 0
	s_mov_b32 s60, 0
	v_bfrev_b32_e32 v7, -2
	v_pk_mov_b32 v[2:3], 0, 0
	s_and_saveexec_b64 s[22:23], s[8:9]
	s_cbranch_execz .LBB20_75
.LBB20_72:                              ;   in Loop: Header=BB20_27 Depth=2
	s_mov_b64 s[42:43], 0
	v_bfrev_b32_e32 v7, -2
	v_pk_mov_b32 v[2:3], 0, 0
	v_pk_mov_b32 v[4:5], v[8:9], v[8:9] op_sel:[0,1]
	v_mov_b32_e32 v34, v0
.LBB20_73:                              ;   Parent Loop BB20_17 Depth=1
                                        ;     Parent Loop BB20_27 Depth=2
                                        ; =>    This Inner Loop Header: Depth=3
	global_load_dwordx2 v[36:37], v[4:5], off
	v_add_co_u32_e32 v4, vcc, 0x800, v4
	v_cmp_eq_u32_e64 s[12:13], s51, v7
	v_add_u32_e32 v35, 1, v34
	v_add_u32_e32 v34, 0x100, v34
	v_addc_co_u32_e32 v5, vcc, 0, v5, vcc
	v_cmp_lt_i32_e64 s[14:15], s86, v34
	s_waitcnt vmcnt(0)
	v_cmp_lt_f64_e64 s[58:59], v[2:3], |v[36:37]|
	v_and_b32_e32 v38, 0x7fffffff, v37
	s_or_b64 vcc, s[58:59], s[12:13]
	v_cndmask_b32_e32 v3, v3, v38, vcc
	v_cndmask_b32_e32 v2, v2, v36, vcc
	s_or_b64 s[42:43], s[14:15], s[42:43]
	v_cndmask_b32_e32 v7, v7, v35, vcc
	s_andn2_b64 exec, exec, s[42:43]
	s_cbranch_execnz .LBB20_73
; %bb.74:                               ;   in Loop: Header=BB20_27 Depth=2
	s_or_b64 exec, exec, s[42:43]
.LBB20_75:                              ;   Parent Loop BB20_17 Depth=1
                                        ;     Parent Loop BB20_27 Depth=2
                                        ; =>    This Loop Header: Depth=3
                                        ;         Child Loop BB20_110 Depth 4
                                        ;         Child Loop BB20_113 Depth 4
	;; [unrolled: 1-line block ×4, first 2 shown]
                                        ;           Child Loop BB20_130 Depth 5
                                        ;         Child Loop BB20_142 Depth 4
                                        ;           Child Loop BB20_143 Depth 5
                                        ;           Child Loop BB20_145 Depth 5
                                        ;         Child Loop BB20_150 Depth 4
	s_or_b64 exec, exec, s[22:23]
	ds_write_b64 v49, v[2:3]
	ds_write_b32 v50, v7 offset:4096
	s_waitcnt lgkmcnt(0)
	s_barrier
	s_and_saveexec_b64 s[14:15], s[2:3]
	s_cbranch_execz .LBB20_81
; %bb.76:                               ;   in Loop: Header=BB20_75 Depth=3
	v_add_u32_e32 v4, v50, v1
	ds_read_b64 v[4:5], v4 offset:1024
	ds_read_b32 v34, v48 offset:512
	s_waitcnt lgkmcnt(1)
	v_cmp_lt_f64_e64 s[22:23], v[2:3], v[4:5]
	v_cmp_nlt_f64_e32 vcc, v[2:3], v[4:5]
	s_and_saveexec_b64 s[42:43], vcc
	s_cbranch_execz .LBB20_78
; %bb.77:                               ;   in Loop: Header=BB20_75 Depth=3
	v_cmp_eq_f64_e32 vcc, v[2:3], v[4:5]
	s_waitcnt lgkmcnt(0)
	v_cmp_gt_i32_e64 s[12:13], v7, v34
	s_and_b64 s[12:13], vcc, s[12:13]
	s_andn2_b64 s[22:23], s[22:23], exec
	s_and_b64 s[12:13], s[12:13], exec
	s_or_b64 s[22:23], s[22:23], s[12:13]
.LBB20_78:                              ;   in Loop: Header=BB20_75 Depth=3
	s_or_b64 exec, exec, s[42:43]
	s_and_saveexec_b64 s[12:13], s[22:23]
	s_cbranch_execz .LBB20_80
; %bb.79:                               ;   in Loop: Header=BB20_75 Depth=3
	s_waitcnt lgkmcnt(0)
	v_mov_b32_e32 v7, v34
	v_pk_mov_b32 v[2:3], v[4:5], v[4:5] op_sel:[0,1]
	ds_write_b64 v49, v[4:5]
	ds_write_b32 v50, v34 offset:4096
.LBB20_80:                              ;   in Loop: Header=BB20_75 Depth=3
	s_or_b64 exec, exec, s[12:13]
.LBB20_81:                              ;   in Loop: Header=BB20_75 Depth=3
	s_or_b64 exec, exec, s[14:15]
	s_waitcnt lgkmcnt(0)
	s_barrier
	s_and_saveexec_b64 s[22:23], s[4:5]
	s_cbranch_execz .LBB20_108
; %bb.82:                               ;   in Loop: Header=BB20_75 Depth=3
	v_add_u32_e32 v34, v50, v1
	ds_read_b64 v[4:5], v34 offset:512
	ds_read_b32 v35, v48 offset:256
	s_waitcnt lgkmcnt(1)
	v_cmp_lt_f64_e64 s[14:15], v[2:3], v[4:5]
	v_cmp_nlt_f64_e32 vcc, v[2:3], v[4:5]
	s_and_saveexec_b64 s[42:43], vcc
	s_cbranch_execz .LBB20_84
; %bb.83:                               ;   in Loop: Header=BB20_75 Depth=3
	v_cmp_eq_f64_e32 vcc, v[2:3], v[4:5]
	s_waitcnt lgkmcnt(0)
	v_cmp_gt_i32_e64 s[12:13], v7, v35
	s_and_b64 s[12:13], vcc, s[12:13]
	s_andn2_b64 s[14:15], s[14:15], exec
	s_and_b64 s[12:13], s[12:13], exec
	s_or_b64 s[14:15], s[14:15], s[12:13]
.LBB20_84:                              ;   in Loop: Header=BB20_75 Depth=3
	s_or_b64 exec, exec, s[42:43]
	s_and_saveexec_b64 s[12:13], s[14:15]
	s_cbranch_execz .LBB20_86
; %bb.85:                               ;   in Loop: Header=BB20_75 Depth=3
	v_pk_mov_b32 v[2:3], v[4:5], v[4:5] op_sel:[0,1]
	s_waitcnt lgkmcnt(0)
	v_mov_b32_e32 v7, v35
	ds_write_b64 v49, v[4:5]
	ds_write_b32 v50, v35 offset:4096
.LBB20_86:                              ;   in Loop: Header=BB20_75 Depth=3
	s_or_b64 exec, exec, s[12:13]
	ds_read_b64 v[4:5], v34 offset:256
	s_waitcnt lgkmcnt(1)
	ds_read_b32 v35, v48 offset:128
	s_waitcnt lgkmcnt(1)
	v_cmp_lt_f64_e64 s[14:15], v[2:3], v[4:5]
	v_cmp_nlt_f64_e32 vcc, v[2:3], v[4:5]
	s_and_saveexec_b64 s[42:43], vcc
	s_cbranch_execz .LBB20_88
; %bb.87:                               ;   in Loop: Header=BB20_75 Depth=3
	v_cmp_eq_f64_e32 vcc, v[2:3], v[4:5]
	s_waitcnt lgkmcnt(0)
	v_cmp_gt_i32_e64 s[12:13], v7, v35
	s_and_b64 s[12:13], vcc, s[12:13]
	s_andn2_b64 s[14:15], s[14:15], exec
	s_and_b64 s[12:13], s[12:13], exec
	s_or_b64 s[14:15], s[14:15], s[12:13]
.LBB20_88:                              ;   in Loop: Header=BB20_75 Depth=3
	s_or_b64 exec, exec, s[42:43]
	s_and_saveexec_b64 s[12:13], s[14:15]
	s_cbranch_execz .LBB20_90
; %bb.89:                               ;   in Loop: Header=BB20_75 Depth=3
	v_pk_mov_b32 v[2:3], v[4:5], v[4:5] op_sel:[0,1]
	s_waitcnt lgkmcnt(0)
	v_mov_b32_e32 v7, v35
	ds_write_b64 v49, v[4:5]
	ds_write_b32 v50, v35 offset:4096
.LBB20_90:                              ;   in Loop: Header=BB20_75 Depth=3
	s_or_b64 exec, exec, s[12:13]
	ds_read_b64 v[4:5], v34 offset:128
	s_waitcnt lgkmcnt(1)
	;; [unrolled: 28-line block ×4, first 2 shown]
	ds_read_b32 v35, v48 offset:16
	s_waitcnt lgkmcnt(1)
	v_cmp_lt_f64_e64 s[14:15], v[2:3], v[4:5]
	v_cmp_nlt_f64_e32 vcc, v[2:3], v[4:5]
	s_and_saveexec_b64 s[42:43], vcc
	s_cbranch_execz .LBB20_100
; %bb.99:                               ;   in Loop: Header=BB20_75 Depth=3
	v_cmp_eq_f64_e32 vcc, v[2:3], v[4:5]
	s_waitcnt lgkmcnt(0)
	v_cmp_gt_i32_e64 s[12:13], v7, v35
	s_and_b64 s[12:13], vcc, s[12:13]
	s_andn2_b64 s[14:15], s[14:15], exec
	s_and_b64 s[12:13], s[12:13], exec
	s_or_b64 s[14:15], s[14:15], s[12:13]
.LBB20_100:                             ;   in Loop: Header=BB20_75 Depth=3
	s_or_b64 exec, exec, s[42:43]
	s_and_saveexec_b64 s[12:13], s[14:15]
	s_cbranch_execz .LBB20_102
; %bb.101:                              ;   in Loop: Header=BB20_75 Depth=3
	v_pk_mov_b32 v[2:3], v[4:5], v[4:5] op_sel:[0,1]
	s_waitcnt lgkmcnt(0)
	v_mov_b32_e32 v7, v35
	ds_write_b64 v49, v[4:5]
	ds_write_b32 v50, v35 offset:4096
.LBB20_102:                             ;   in Loop: Header=BB20_75 Depth=3
	s_or_b64 exec, exec, s[12:13]
	ds_read_b64 v[4:5], v34 offset:16
	s_waitcnt lgkmcnt(1)
	ds_read_b32 v35, v48 offset:8
	s_waitcnt lgkmcnt(1)
	v_cmp_lt_f64_e64 s[14:15], v[2:3], v[4:5]
	v_cmp_nlt_f64_e32 vcc, v[2:3], v[4:5]
	s_and_saveexec_b64 s[42:43], vcc
	s_cbranch_execz .LBB20_104
; %bb.103:                              ;   in Loop: Header=BB20_75 Depth=3
	v_cmp_eq_f64_e32 vcc, v[2:3], v[4:5]
	s_waitcnt lgkmcnt(0)
	v_cmp_gt_i32_e64 s[12:13], v7, v35
	s_and_b64 s[12:13], vcc, s[12:13]
	s_andn2_b64 s[14:15], s[14:15], exec
	s_and_b64 s[12:13], s[12:13], exec
	s_or_b64 s[14:15], s[14:15], s[12:13]
.LBB20_104:                             ;   in Loop: Header=BB20_75 Depth=3
	s_or_b64 exec, exec, s[42:43]
	s_and_saveexec_b64 s[12:13], s[14:15]
	s_cbranch_execz .LBB20_106
; %bb.105:                              ;   in Loop: Header=BB20_75 Depth=3
	v_pk_mov_b32 v[2:3], v[4:5], v[4:5] op_sel:[0,1]
	s_waitcnt lgkmcnt(0)
	v_mov_b32_e32 v7, v35
	ds_write_b64 v49, v[4:5]
	ds_write_b32 v50, v35 offset:4096
.LBB20_106:                             ;   in Loop: Header=BB20_75 Depth=3
	s_or_b64 exec, exec, s[12:13]
	ds_read_b64 v[4:5], v34 offset:8
	ds_read_b32 v34, v48 offset:4
	s_waitcnt lgkmcnt(1)
	v_cmp_eq_f64_e64 s[12:13], v[2:3], v[4:5]
	s_waitcnt lgkmcnt(0)
	v_cmp_gt_i32_e64 s[14:15], v7, v34
	v_cmp_lt_f64_e32 vcc, v[2:3], v[4:5]
	s_and_b64 s[12:13], s[12:13], s[14:15]
	s_or_b64 s[12:13], vcc, s[12:13]
	s_and_b64 exec, exec, s[12:13]
	s_cbranch_execz .LBB20_108
; %bb.107:                              ;   in Loop: Header=BB20_75 Depth=3
	ds_write_b64 v49, v[4:5]
	ds_write_b32 v50, v34 offset:4096
.LBB20_108:                             ;   in Loop: Header=BB20_75 Depth=3
	s_or_b64 exec, exec, s[22:23]
	s_waitcnt lgkmcnt(0)
	s_barrier
	s_and_saveexec_b64 s[12:13], s[8:9]
	s_cbranch_execz .LBB20_111
; %bb.109:                              ;   in Loop: Header=BB20_75 Depth=3
	global_load_dwordx2 v[2:3], v6, s[92:93]
	ds_read_b64 v[4:5], v54
	v_mov_b32_e32 v7, s25
	v_mov_b32_e32 v34, s24
	s_mov_b64 s[14:15], 0
	s_waitcnt vmcnt(0)
	v_and_b32_e32 v35, 0x7fffffff, v3
	v_cmp_gt_f64_e64 vcc, |v[2:3]|, s[24:25]
	v_cndmask_b32_e32 v3, v7, v35, vcc
	v_cndmask_b32_e32 v2, v34, v2, vcc
	v_mul_f64 v[34:35], v[26:27], v[2:3]
	s_waitcnt lgkmcnt(0)
	v_div_scale_f64 v[36:37], s[22:23], v[4:5], v[4:5], v[34:35]
	v_rcp_f64_e32 v[38:39], v[36:37]
	v_div_scale_f64 v[40:41], vcc, v[34:35], v[4:5], v[34:35]
	v_pk_mov_b32 v[2:3], v[8:9], v[8:9] op_sel:[0,1]
	v_fma_f64 v[42:43], -v[36:37], v[38:39], 1.0
	v_fmac_f64_e32 v[38:39], v[38:39], v[42:43]
	v_fma_f64 v[42:43], -v[36:37], v[38:39], 1.0
	v_fmac_f64_e32 v[38:39], v[38:39], v[42:43]
	v_mul_f64 v[42:43], v[40:41], v[38:39]
	v_fma_f64 v[36:37], -v[36:37], v[42:43], v[40:41]
	v_div_fmas_f64 v[36:37], v[36:37], v[38:39], v[42:43]
	v_div_fixup_f64 v[4:5], v[36:37], v[4:5], v[34:35]
	v_mov_b32_e32 v7, v0
.LBB20_110:                             ;   Parent Loop BB20_17 Depth=1
                                        ;     Parent Loop BB20_27 Depth=2
                                        ;       Parent Loop BB20_75 Depth=3
                                        ; =>      This Inner Loop Header: Depth=4
	global_load_dwordx2 v[34:35], v[2:3], off
	v_add_u32_e32 v7, 0x100, v7
	v_cmp_lt_i32_e32 vcc, s86, v7
	s_or_b64 s[14:15], vcc, s[14:15]
	s_waitcnt vmcnt(0)
	v_mul_f64 v[34:35], v[4:5], v[34:35]
	global_store_dwordx2 v[2:3], v[34:35], off
	v_add_co_u32_e32 v2, vcc, 0x800, v2
	v_addc_co_u32_e32 v3, vcc, 0, v3, vcc
	s_andn2_b64 exec, exec, s[14:15]
	s_cbranch_execnz .LBB20_110
.LBB20_111:                             ;   in Loop: Header=BB20_75 Depth=3
	s_or_b64 exec, exec, s[12:13]
	s_barrier
	s_and_saveexec_b64 s[14:15], s[0:1]
	s_cbranch_execz .LBB20_138
; %bb.112:                              ;   in Loop: Header=BB20_75 Depth=3
	global_load_dwordx4 v[2:5], v6, s[40:41]
	global_load_dwordx2 v[34:35], v6, s[54:55]
	s_mov_b64 s[12:13], s[68:69]
	s_mov_b64 s[22:23], s[66:67]
	;; [unrolled: 1-line block ×3, first 2 shown]
	s_andn2_b64 vcc, exec, s[70:71]
	s_mov_b32 s16, s85
	s_waitcnt vmcnt(1)
	v_max_f64 v[4:5], |v[4:5]|, |v[4:5]|
	s_waitcnt vmcnt(0)
	v_max_f64 v[34:35], |v[34:35]|, |v[34:35]|
	v_max_f64 v[2:3], |v[2:3]|, |v[2:3]|
	v_max_f64 v[4:5], v[4:5], v[34:35]
	v_max_f64 v[34:35], v[2:3], v[4:5]
	s_cbranch_vccnz .LBB20_114
.LBB20_113:                             ;   Parent Loop BB20_17 Depth=1
                                        ;     Parent Loop BB20_27 Depth=2
                                        ;       Parent Loop BB20_75 Depth=3
                                        ; =>      This Inner Loop Header: Depth=4
	global_load_dwordx2 v[2:3], v6, s[22:23]
	global_load_dwordx2 v[4:5], v6, s[42:43]
	;; [unrolled: 1-line block ×3, first 2 shown]
	s_add_i32 s16, s16, -1
	s_add_u32 s42, s42, 8
	s_addc_u32 s43, s43, 0
	s_add_u32 s22, s22, 8
	s_addc_u32 s23, s23, 0
	v_max_f64 v[34:35], v[34:35], v[34:35]
	s_add_u32 s12, s12, 8
	s_addc_u32 s13, s13, 0
	s_cmp_lg_u32 s16, 0
	s_waitcnt vmcnt(2)
	v_max_f64 v[2:3], |v[2:3]|, |v[2:3]|
	s_waitcnt vmcnt(1)
	v_max_f64 v[4:5], |v[4:5]|, |v[4:5]|
	;; [unrolled: 2-line block ×3, first 2 shown]
	v_max_f64 v[2:3], v[34:35], v[2:3]
	v_max_f64 v[4:5], v[36:37], v[4:5]
	;; [unrolled: 1-line block ×3, first 2 shown]
	s_cbranch_scc1 .LBB20_113
.LBB20_114:                             ;   in Loop: Header=BB20_75 Depth=3
	s_mov_b32 s16, 1
	s_mov_b64 s[12:13], 0
	s_mov_b32 s61, s86
	s_mov_b64 s[22:23], s[74:75]
	s_branch .LBB20_116
.LBB20_115:                             ;   in Loop: Header=BB20_116 Depth=4
	s_add_u32 s58, s58, s12
	s_addc_u32 s59, s59, s13
	global_load_dwordx2 v[36:37], v6, s[58:59]
	s_add_i32 s16, s16, 1
	s_add_u32 s12, s12, 8
	s_addc_u32 s13, s13, 0
	s_add_u32 s22, s22, 4
	s_addc_u32 s23, s23, 0
	s_add_i32 s61, s61, -1
	s_cmp_lg_u32 s61, 0
	s_waitcnt vmcnt(0)
	v_fma_f64 v[2:3], -v[4:5], v[36:37], v[2:3]
	global_store_dwordx2 v6, v[2:3], s[42:43]
	s_cbranch_scc0 .LBB20_120
.LBB20_116:                             ;   Parent Loop BB20_17 Depth=1
                                        ;     Parent Loop BB20_27 Depth=2
                                        ;       Parent Loop BB20_75 Depth=3
                                        ; =>      This Inner Loop Header: Depth=4
	global_load_dword v2, v6, s[22:23]
	s_waitcnt vmcnt(0)
	v_cmp_ne_u32_e32 vcc, 0, v2
	s_cbranch_vccz .LBB20_118
; %bb.117:                              ;   in Loop: Header=BB20_116 Depth=4
	s_add_u32 s58, s36, s12
	s_addc_u32 s59, s37, s13
	global_load_dwordx4 v[2:5], v6, s[58:59]
	s_lshl_b64 s[42:43], s[16:17], 3
	s_add_u32 s42, s36, s42
	s_addc_u32 s43, s37, s43
	s_waitcnt vmcnt(0)
	global_store_dwordx2 v6, v[4:5], s[58:59]
	s_mov_b64 s[58:59], s[46:47]
	s_cbranch_execnz .LBB20_115
	s_branch .LBB20_119
.LBB20_118:                             ;   in Loop: Header=BB20_116 Depth=4
                                        ; implicit-def: $sgpr42_sgpr43
                                        ; implicit-def: $vgpr2_vgpr3
	s_mov_b64 s[58:59], s[46:47]
.LBB20_119:                             ;   in Loop: Header=BB20_116 Depth=4
	s_add_u32 s58, s36, s12
	s_addc_u32 s59, s37, s13
	s_add_u32 s42, s58, 8
	s_addc_u32 s43, s59, 0
	;; [unrolled: 2-line block ×3, first 2 shown]
	global_load_dwordx2 v[2:3], v6, s[58:59] offset:8
	global_load_dwordx2 v[4:5], v6, s[62:63]
	s_mov_b64 s[58:59], s[36:37]
	s_branch .LBB20_115
.LBB20_120:                             ;   in Loop: Header=BB20_75 Depth=3
	v_mul_f64 v[2:3], v[34:35], s[24:25]
	v_cmp_eq_f64_e32 vcc, 0, v[2:3]
	s_and_b64 s[12:13], vcc, exec
	v_readfirstlane_b32 s16, v3
	v_readfirstlane_b32 s12, v2
	s_cselect_b32 s61, s25, s16
	s_cselect_b32 s62, s24, s12
	s_and_b32 s63, s61, 0x7fffffff
	s_mov_b32 s64, s62
	s_mov_b32 s16, s86
	s_branch .LBB20_123
.LBB20_121:                             ;   in Loop: Header=BB20_123 Depth=4
	v_pk_mov_b32 v[4:5], v[40:41], v[40:41] op_sel:[0,1]
.LBB20_122:                             ;   in Loop: Header=BB20_123 Depth=4
	v_div_scale_f64 v[34:35], s[12:13], v[4:5], v[4:5], v[2:3]
	v_rcp_f64_e32 v[36:37], v[34:35]
	v_div_scale_f64 v[38:39], vcc, v[2:3], v[4:5], v[2:3]
	s_add_i32 s12, s16, -1
	v_fma_f64 v[40:41], -v[34:35], v[36:37], 1.0
	v_fmac_f64_e32 v[36:37], v[36:37], v[40:41]
	v_fma_f64 v[40:41], -v[34:35], v[36:37], 1.0
	v_fmac_f64_e32 v[36:37], v[36:37], v[40:41]
	v_mul_f64 v[40:41], v[38:39], v[36:37]
	v_fma_f64 v[34:35], -v[34:35], v[40:41], v[38:39]
	v_div_fmas_f64 v[34:35], v[34:35], v[36:37], v[40:41]
	v_div_fixup_f64 v[2:3], v[34:35], v[4:5], v[2:3]
	s_cmp_gt_i32 s16, 0
	s_mov_b32 s16, s12
	global_store_dwordx2 v6, v[2:3], s[22:23]
	s_cbranch_scc0 .LBB20_138
.LBB20_123:                             ;   Parent Loop BB20_17 Depth=1
                                        ;     Parent Loop BB20_27 Depth=2
                                        ;       Parent Loop BB20_75 Depth=3
                                        ; =>      This Loop Header: Depth=4
                                        ;           Child Loop BB20_130 Depth 5
	s_lshl_b64 s[12:13], s[16:17], 3
	s_add_u32 s22, s36, s12
	s_addc_u32 s23, s37, s13
	global_load_dwordx2 v[2:3], v6, s[22:23]
	s_cmp_ge_i32 s16, s86
	s_cbranch_scc1 .LBB20_125
; %bb.124:                              ;   in Loop: Header=BB20_123 Depth=4
	s_add_u32 s42, s54, s12
	s_addc_u32 s43, s55, s13
	global_load_dwordx2 v[4:5], v6, s[42:43]
	global_load_dwordx2 v[34:35], v6, s[22:23] offset:8
	s_waitcnt vmcnt(0)
	v_fma_f64 v[2:3], -v[4:5], v[34:35], v[2:3]
.LBB20_125:                             ;   in Loop: Header=BB20_123 Depth=4
	s_cmp_ge_i32 s16, s85
	s_cbranch_scc1 .LBB20_127
; %bb.126:                              ;   in Loop: Header=BB20_123 Depth=4
	s_add_u32 s42, s48, s12
	s_addc_u32 s43, s49, s13
	global_load_dwordx2 v[4:5], v6, s[42:43]
	global_load_dwordx2 v[34:35], v6, s[22:23] offset:16
	s_waitcnt vmcnt(0)
	v_fma_f64 v[2:3], -v[4:5], v[34:35], v[2:3]
.LBB20_127:                             ;   in Loop: Header=BB20_123 Depth=4
	s_add_u32 s12, s40, s12
	s_addc_u32 s13, s41, s13
	global_load_dwordx2 v[4:5], v6, s[12:13]
	s_waitcnt vmcnt(0)
	v_cmp_nlt_f64_e64 s[12:13], |v[4:5]|, 1.0
	s_and_b64 vcc, exec, s[12:13]
	s_cbranch_vccnz .LBB20_122
; %bb.128:                              ;   in Loop: Header=BB20_123 Depth=4
	v_cmp_nle_f64_e32 vcc, 0, v[4:5]
	s_xor_b32 s42, s63, 0x80000000
	s_and_b32 s43, s61, 0x7fffffff
	s_and_b64 s[12:13], vcc, exec
	s_cselect_b32 s13, s42, s43
	s_cselect_b32 s12, s64, s62
	v_and_b32_e32 v39, 0x7fffffff, v5
	v_mov_b32_e32 v38, v4
	v_mul_f64 v[34:35], |v[2:3]|, s[26:27]
	v_pk_mov_b32 v[36:37], s[12:13], s[12:13] op_sel:[0,1]
	s_branch .LBB20_130
.LBB20_129:                             ;   in Loop: Header=BB20_130 Depth=5
	v_add_f64 v[40:41], v[4:5], v[36:37]
	v_add_f64 v[36:37], v[36:37], v[36:37]
	v_and_b32_e32 v39, 0x7fffffff, v41
	v_mov_b32_e32 v38, v40
	v_cmp_nlt_f64_e64 s[42:43], |v[40:41]|, 1.0
	s_mov_b64 s[12:13], -1
	v_pk_mov_b32 v[42:43], v[4:5], v[4:5] op_sel:[0,1]
	s_andn2_b64 vcc, exec, s[42:43]
	v_pk_mov_b32 v[4:5], v[40:41], v[40:41] op_sel:[0,1]
	s_cbranch_vccz .LBB20_136
.LBB20_130:                             ;   Parent Loop BB20_17 Depth=1
                                        ;     Parent Loop BB20_27 Depth=2
                                        ;       Parent Loop BB20_75 Depth=3
                                        ;         Parent Loop BB20_123 Depth=4
                                        ; =>        This Inner Loop Header: Depth=5
	v_cmp_ngt_f64_e32 vcc, s[26:27], v[38:39]
	s_cbranch_vccz .LBB20_132
; %bb.131:                              ;   in Loop: Header=BB20_130 Depth=5
	v_mul_f64 v[40:41], v[16:17], v[38:39]
	v_cmp_gt_f64_e64 s[42:43], |v[2:3]|, v[40:41]
	s_mov_b64 s[12:13], -1
	v_pk_mov_b32 v[40:41], v[4:5], v[4:5] op_sel:[0,1]
	v_pk_mov_b32 v[42:43], v[4:5], v[4:5] op_sel:[0,1]
	s_cbranch_execz .LBB20_133
	s_branch .LBB20_134
.LBB20_132:                             ;   in Loop: Header=BB20_130 Depth=5
	s_mov_b64 s[42:43], 0
                                        ; implicit-def: $sgpr12_sgpr13
	v_pk_mov_b32 v[40:41], v[4:5], v[4:5] op_sel:[0,1]
	v_pk_mov_b32 v[42:43], v[4:5], v[4:5] op_sel:[0,1]
.LBB20_133:                             ;   in Loop: Header=BB20_130 Depth=5
	v_cmp_eq_f64_e32 vcc, 0, v[4:5]
	v_cmp_gt_f64_e64 s[12:13], v[34:35], v[38:39]
	s_or_b64 s[42:43], vcc, s[12:13]
	s_mov_b64 s[12:13], 0
	v_pk_mov_b32 v[42:43], v[4:5], v[4:5] op_sel:[0,1]
                                        ; implicit-def: $vgpr40_vgpr41
.LBB20_134:                             ;   in Loop: Header=BB20_130 Depth=5
	s_andn2_b64 vcc, exec, s[42:43]
	s_cbranch_vccz .LBB20_129
; %bb.135:                              ;   in Loop: Header=BB20_123 Depth=4
                                        ; implicit-def: $vgpr36_vgpr37
                                        ; implicit-def: $vgpr38_vgpr39
	v_pk_mov_b32 v[4:5], v[40:41], v[40:41] op_sel:[0,1]
.LBB20_136:                             ;   in Loop: Header=BB20_123 Depth=4
	s_andn2_b64 vcc, exec, s[12:13]
	s_cbranch_vccz .LBB20_121
; %bb.137:                              ;   in Loop: Header=BB20_123 Depth=4
	v_mul_f64 v[2:3], v[16:17], v[2:3]
	v_mul_f64 v[40:41], v[16:17], v[42:43]
	s_branch .LBB20_121
.LBB20_138:                             ;   in Loop: Header=BB20_75 Depth=3
	s_or_b64 exec, exec, s[14:15]
	s_andn2_b64 vcc, exec, s[38:39]
	s_barrier
	s_cbranch_vccnz .LBB20_148
; %bb.139:                              ;   in Loop: Header=BB20_75 Depth=3
	s_and_b64 s[12:13], s[72:73], exec
	s_cselect_b32 s16, s44, s7
	s_cmp_eq_u32 s16, s44
	s_mov_b32 s7, s44
	s_cbranch_scc1 .LBB20_148
; %bb.140:                              ;   in Loop: Header=BB20_75 Depth=3
	s_cmp_lt_i32 s16, s44
	s_cselect_b64 s[12:13], -1, 0
	s_and_b64 s[14:15], s[0:1], s[12:13]
	s_and_saveexec_b64 s[12:13], s[14:15]
	s_cbranch_execz .LBB20_147
; %bb.141:                              ;   in Loop: Header=BB20_75 Depth=3
	s_mul_i32 s7, s53, s16
	s_add_i32 s7, s82, s7
	s_mov_b32 s42, s16
.LBB20_142:                             ;   Parent Loop BB20_17 Depth=1
                                        ;     Parent Loop BB20_27 Depth=2
                                        ;       Parent Loop BB20_75 Depth=3
                                        ; =>      This Loop Header: Depth=4
                                        ;           Child Loop BB20_143 Depth 5
                                        ;           Child Loop BB20_145 Depth 5
	v_pk_mov_b32 v[2:3], 0, 0
	s_mov_b64 s[14:15], s[36:37]
	s_mov_b32 s22, s7
	s_mov_b32 s43, s87
.LBB20_143:                             ;   Parent Loop BB20_17 Depth=1
                                        ;     Parent Loop BB20_27 Depth=2
                                        ;       Parent Loop BB20_75 Depth=3
                                        ;         Parent Loop BB20_142 Depth=4
                                        ; =>        This Inner Loop Header: Depth=5
	s_ashr_i32 s23, s22, 31
	s_lshl_b64 s[58:59], s[22:23], 3
	s_add_u32 s58, s52, s58
	s_addc_u32 s59, s56, s59
	global_load_dwordx2 v[4:5], v6, s[14:15]
	global_load_dwordx2 v[34:35], v6, s[58:59]
	s_add_i32 s43, s43, -1
	s_add_i32 s22, s22, 1
	s_add_u32 s14, s14, 8
	s_addc_u32 s15, s15, 0
	s_cmp_lg_u32 s43, 0
	s_waitcnt vmcnt(0)
	v_fmac_f64_e32 v[2:3], v[4:5], v[34:35]
	s_cbranch_scc1 .LBB20_143
; %bb.144:                              ;   in Loop: Header=BB20_142 Depth=4
	s_mov_b32 s22, 0
	s_mov_b64 s[14:15], s[36:37]
.LBB20_145:                             ;   Parent Loop BB20_17 Depth=1
                                        ;     Parent Loop BB20_27 Depth=2
                                        ;       Parent Loop BB20_75 Depth=3
                                        ;         Parent Loop BB20_142 Depth=4
                                        ; =>        This Inner Loop Header: Depth=5
	s_add_i32 s58, s7, s22
	s_ashr_i32 s59, s58, 31
	s_lshl_b64 s[58:59], s[58:59], 3
	s_add_u32 s58, s52, s58
	s_addc_u32 s59, s56, s59
	global_load_dwordx2 v[4:5], v6, s[14:15]
	global_load_dwordx2 v[34:35], v6, s[58:59]
	s_add_i32 s22, s22, 1
	s_waitcnt vmcnt(0)
	v_fma_f64 v[4:5], -v[2:3], v[34:35], v[4:5]
	global_store_dwordx2 v6, v[4:5], s[14:15]
	s_add_u32 s14, s14, 8
	s_addc_u32 s15, s15, 0
	s_cmp_lg_u32 s87, s22
	s_cbranch_scc1 .LBB20_145
; %bb.146:                              ;   in Loop: Header=BB20_142 Depth=4
	s_add_i32 s42, s42, 1
	s_add_i32 s7, s7, s53
	s_cmp_lt_i32 s42, s44
	s_cbranch_scc1 .LBB20_142
.LBB20_147:                             ;   in Loop: Header=BB20_75 Depth=3
	s_or_b64 exec, exec, s[12:13]
	s_mov_b32 s7, s16
	s_barrier
.LBB20_148:                             ;   in Loop: Header=BB20_75 Depth=3
	v_bfrev_b32_e32 v7, -2
	v_pk_mov_b32 v[2:3], 0, 0
	s_and_saveexec_b64 s[22:23], s[8:9]
	s_cbranch_execz .LBB20_152
; %bb.149:                              ;   in Loop: Header=BB20_75 Depth=3
	s_mov_b64 s[42:43], 0
	v_bfrev_b32_e32 v7, -2
	v_pk_mov_b32 v[2:3], 0, 0
	v_pk_mov_b32 v[4:5], v[8:9], v[8:9] op_sel:[0,1]
	v_mov_b32_e32 v34, v0
.LBB20_150:                             ;   Parent Loop BB20_17 Depth=1
                                        ;     Parent Loop BB20_27 Depth=2
                                        ;       Parent Loop BB20_75 Depth=3
                                        ; =>      This Inner Loop Header: Depth=4
	global_load_dwordx2 v[36:37], v[4:5], off
	v_add_co_u32_e32 v4, vcc, 0x800, v4
	v_cmp_eq_u32_e64 s[12:13], s51, v7
	v_add_u32_e32 v35, 1, v34
	v_add_u32_e32 v34, 0x100, v34
	v_addc_co_u32_e32 v5, vcc, 0, v5, vcc
	v_cmp_lt_i32_e64 s[14:15], s86, v34
	s_waitcnt vmcnt(0)
	v_cmp_lt_f64_e64 s[58:59], v[2:3], |v[36:37]|
	v_and_b32_e32 v38, 0x7fffffff, v37
	s_or_b64 vcc, s[58:59], s[12:13]
	v_cndmask_b32_e32 v3, v3, v38, vcc
	v_cndmask_b32_e32 v2, v2, v36, vcc
	s_or_b64 s[42:43], s[14:15], s[42:43]
	v_cndmask_b32_e32 v7, v7, v35, vcc
	s_andn2_b64 exec, exec, s[42:43]
	s_cbranch_execnz .LBB20_150
; %bb.151:                              ;   in Loop: Header=BB20_75 Depth=3
	s_or_b64 exec, exec, s[42:43]
.LBB20_152:                             ;   in Loop: Header=BB20_75 Depth=3
	s_or_b64 exec, exec, s[22:23]
	ds_write_b64 v49, v[2:3]
	ds_write_b32 v50, v7 offset:4096
	s_waitcnt lgkmcnt(0)
	s_barrier
	s_and_saveexec_b64 s[14:15], s[2:3]
	s_cbranch_execz .LBB20_158
; %bb.153:                              ;   in Loop: Header=BB20_75 Depth=3
	v_add_u32_e32 v4, v50, v1
	ds_read_b64 v[4:5], v4 offset:1024
	ds_read_b32 v34, v48 offset:512
	s_waitcnt lgkmcnt(1)
	v_cmp_lt_f64_e64 s[22:23], v[2:3], v[4:5]
	v_cmp_nlt_f64_e32 vcc, v[2:3], v[4:5]
	s_and_saveexec_b64 s[42:43], vcc
	s_cbranch_execz .LBB20_155
; %bb.154:                              ;   in Loop: Header=BB20_75 Depth=3
	v_cmp_eq_f64_e32 vcc, v[2:3], v[4:5]
	s_waitcnt lgkmcnt(0)
	v_cmp_gt_i32_e64 s[12:13], v7, v34
	s_and_b64 s[12:13], vcc, s[12:13]
	s_andn2_b64 s[22:23], s[22:23], exec
	s_and_b64 s[12:13], s[12:13], exec
	s_or_b64 s[22:23], s[22:23], s[12:13]
.LBB20_155:                             ;   in Loop: Header=BB20_75 Depth=3
	s_or_b64 exec, exec, s[42:43]
	s_and_saveexec_b64 s[12:13], s[22:23]
	s_cbranch_execz .LBB20_157
; %bb.156:                              ;   in Loop: Header=BB20_75 Depth=3
	s_waitcnt lgkmcnt(0)
	v_mov_b32_e32 v7, v34
	v_pk_mov_b32 v[2:3], v[4:5], v[4:5] op_sel:[0,1]
	ds_write_b64 v49, v[4:5]
	ds_write_b32 v50, v34 offset:4096
.LBB20_157:                             ;   in Loop: Header=BB20_75 Depth=3
	s_or_b64 exec, exec, s[12:13]
.LBB20_158:                             ;   in Loop: Header=BB20_75 Depth=3
	s_or_b64 exec, exec, s[14:15]
	s_waitcnt lgkmcnt(0)
	s_barrier
	s_and_saveexec_b64 s[22:23], s[4:5]
	s_cbranch_execz .LBB20_185
; %bb.159:                              ;   in Loop: Header=BB20_75 Depth=3
	v_add_u32_e32 v34, v50, v1
	ds_read_b64 v[4:5], v34 offset:512
	ds_read_b32 v35, v48 offset:256
	s_waitcnt lgkmcnt(1)
	v_cmp_lt_f64_e64 s[14:15], v[2:3], v[4:5]
	v_cmp_nlt_f64_e32 vcc, v[2:3], v[4:5]
	s_and_saveexec_b64 s[42:43], vcc
	s_cbranch_execz .LBB20_161
; %bb.160:                              ;   in Loop: Header=BB20_75 Depth=3
	v_cmp_eq_f64_e32 vcc, v[2:3], v[4:5]
	s_waitcnt lgkmcnt(0)
	v_cmp_gt_i32_e64 s[12:13], v7, v35
	s_and_b64 s[12:13], vcc, s[12:13]
	s_andn2_b64 s[14:15], s[14:15], exec
	s_and_b64 s[12:13], s[12:13], exec
	s_or_b64 s[14:15], s[14:15], s[12:13]
.LBB20_161:                             ;   in Loop: Header=BB20_75 Depth=3
	s_or_b64 exec, exec, s[42:43]
	s_and_saveexec_b64 s[12:13], s[14:15]
	s_cbranch_execz .LBB20_163
; %bb.162:                              ;   in Loop: Header=BB20_75 Depth=3
	v_pk_mov_b32 v[2:3], v[4:5], v[4:5] op_sel:[0,1]
	s_waitcnt lgkmcnt(0)
	v_mov_b32_e32 v7, v35
	ds_write_b64 v49, v[4:5]
	ds_write_b32 v50, v35 offset:4096
.LBB20_163:                             ;   in Loop: Header=BB20_75 Depth=3
	s_or_b64 exec, exec, s[12:13]
	ds_read_b64 v[4:5], v34 offset:256
	s_waitcnt lgkmcnt(1)
	ds_read_b32 v35, v48 offset:128
	s_waitcnt lgkmcnt(1)
	v_cmp_lt_f64_e64 s[14:15], v[2:3], v[4:5]
	v_cmp_nlt_f64_e32 vcc, v[2:3], v[4:5]
	s_and_saveexec_b64 s[42:43], vcc
	s_cbranch_execz .LBB20_165
; %bb.164:                              ;   in Loop: Header=BB20_75 Depth=3
	v_cmp_eq_f64_e32 vcc, v[2:3], v[4:5]
	s_waitcnt lgkmcnt(0)
	v_cmp_gt_i32_e64 s[12:13], v7, v35
	s_and_b64 s[12:13], vcc, s[12:13]
	s_andn2_b64 s[14:15], s[14:15], exec
	s_and_b64 s[12:13], s[12:13], exec
	s_or_b64 s[14:15], s[14:15], s[12:13]
.LBB20_165:                             ;   in Loop: Header=BB20_75 Depth=3
	s_or_b64 exec, exec, s[42:43]
	s_and_saveexec_b64 s[12:13], s[14:15]
	s_cbranch_execz .LBB20_167
; %bb.166:                              ;   in Loop: Header=BB20_75 Depth=3
	v_pk_mov_b32 v[2:3], v[4:5], v[4:5] op_sel:[0,1]
	s_waitcnt lgkmcnt(0)
	v_mov_b32_e32 v7, v35
	ds_write_b64 v49, v[4:5]
	ds_write_b32 v50, v35 offset:4096
.LBB20_167:                             ;   in Loop: Header=BB20_75 Depth=3
	s_or_b64 exec, exec, s[12:13]
	ds_read_b64 v[4:5], v34 offset:128
	s_waitcnt lgkmcnt(1)
	;; [unrolled: 28-line block ×5, first 2 shown]
	ds_read_b32 v35, v48 offset:8
	s_waitcnt lgkmcnt(1)
	v_cmp_lt_f64_e64 s[14:15], v[2:3], v[4:5]
	v_cmp_nlt_f64_e32 vcc, v[2:3], v[4:5]
	s_and_saveexec_b64 s[42:43], vcc
	s_cbranch_execz .LBB20_181
; %bb.180:                              ;   in Loop: Header=BB20_75 Depth=3
	v_cmp_eq_f64_e32 vcc, v[2:3], v[4:5]
	s_waitcnt lgkmcnt(0)
	v_cmp_gt_i32_e64 s[12:13], v7, v35
	s_and_b64 s[12:13], vcc, s[12:13]
	s_andn2_b64 s[14:15], s[14:15], exec
	s_and_b64 s[12:13], s[12:13], exec
	s_or_b64 s[14:15], s[14:15], s[12:13]
.LBB20_181:                             ;   in Loop: Header=BB20_75 Depth=3
	s_or_b64 exec, exec, s[42:43]
	s_and_saveexec_b64 s[12:13], s[14:15]
	s_cbranch_execz .LBB20_183
; %bb.182:                              ;   in Loop: Header=BB20_75 Depth=3
	v_pk_mov_b32 v[2:3], v[4:5], v[4:5] op_sel:[0,1]
	s_waitcnt lgkmcnt(0)
	v_mov_b32_e32 v7, v35
	ds_write_b64 v49, v[4:5]
	ds_write_b32 v50, v35 offset:4096
.LBB20_183:                             ;   in Loop: Header=BB20_75 Depth=3
	s_or_b64 exec, exec, s[12:13]
	ds_read_b64 v[4:5], v34 offset:8
	ds_read_b32 v34, v48 offset:4
	s_waitcnt lgkmcnt(1)
	v_cmp_eq_f64_e64 s[12:13], v[2:3], v[4:5]
	s_waitcnt lgkmcnt(0)
	v_cmp_gt_i32_e64 s[14:15], v7, v34
	v_cmp_lt_f64_e32 vcc, v[2:3], v[4:5]
	s_and_b64 s[12:13], s[12:13], s[14:15]
	s_or_b64 s[12:13], vcc, s[12:13]
	s_and_b64 exec, exec, s[12:13]
	s_cbranch_execz .LBB20_185
; %bb.184:                              ;   in Loop: Header=BB20_75 Depth=3
	ds_write_b64 v49, v[4:5]
	ds_write_b32 v50, v34 offset:4096
.LBB20_185:                             ;   in Loop: Header=BB20_75 Depth=3
	s_or_b64 exec, exec, s[22:23]
	s_waitcnt lgkmcnt(0)
	s_barrier
	ds_read_b64 v[2:3], v54
	s_waitcnt lgkmcnt(0)
	v_cmp_ge_f64_e32 vcc, v[2:3], v[24:25]
	s_cmp_lg_u64 vcc, 0
	s_addc_u32 s45, s45, 0
	s_add_i32 s14, s60, 1
	s_cmp_lt_u32 s60, 4
	s_cselect_b64 s[22:23], -1, 0
	s_cmp_lt_u32 s45, 2
	s_cselect_b64 s[12:13], -1, 0
	s_and_b64 s[22:23], s[22:23], s[12:13]
	s_and_b64 vcc, exec, s[22:23]
	s_cbranch_vccz .LBB20_187
; %bb.186:                              ;   in Loop: Header=BB20_75 Depth=3
	s_mov_b32 s60, s14
	v_bfrev_b32_e32 v7, -2
	v_pk_mov_b32 v[2:3], 0, 0
	s_and_saveexec_b64 s[22:23], s[8:9]
	s_cbranch_execnz .LBB20_72
	s_branch .LBB20_75
.LBB20_187:                             ;   in Loop: Header=BB20_27 Depth=2
	v_readlane_b32 s14, v64, 8
	v_readlane_b32 s15, v64, 9
	s_and_b64 s[14:15], s[14:15], s[12:13]
	s_and_saveexec_b64 s[12:13], s[14:15]
	s_cbranch_execz .LBB20_189
; %bb.188:                              ;   in Loop: Header=BB20_27 Depth=2
	ds_read_b32 v2, v6
	v_readlane_b32 s22, v64, 2
	v_readlane_b32 s23, v64, 3
	s_add_i32 s14, s44, 1
	v_mov_b32_e32 v7, s23
	s_waitcnt lgkmcnt(0)
	v_ashrrev_i32_e32 v3, 31, v2
	v_lshlrev_b64 v[4:5], 2, v[2:3]
	v_add_co_u32_e32 v4, vcc, s22, v4
	v_addc_co_u32_e32 v5, vcc, v7, v5, vcc
	v_mov_b32_e32 v3, s14
	v_add_u32_e32 v2, 1, v2
	flat_store_dword v[4:5], v3
	ds_write_b32 v6, v2
.LBB20_189:                             ;   in Loop: Header=BB20_27 Depth=2
	s_or_b64 exec, exec, s[12:13]
	v_bfrev_b32_e32 v34, -2
	v_pk_mov_b32 v[2:3], 0, 0
	s_and_saveexec_b64 s[22:23], s[8:9]
	v_readlane_b32 s62, v64, 37
	v_readlane_b32 s64, v64, 46
	s_mov_b32 s60, s10
	s_mov_b32 s61, s11
	v_readlane_b32 s63, v64, 38
	v_readlane_b32 s65, v64, 47
	s_cbranch_execz .LBB20_193
; %bb.190:                              ;   in Loop: Header=BB20_27 Depth=2
	s_mov_b64 s[38:39], 0
	v_bfrev_b32_e32 v34, -2
	v_pk_mov_b32 v[2:3], 0, 0
	v_pk_mov_b32 v[4:5], v[8:9], v[8:9] op_sel:[0,1]
	v_mov_b32_e32 v7, v0
.LBB20_191:                             ;   Parent Loop BB20_17 Depth=1
                                        ;     Parent Loop BB20_27 Depth=2
                                        ; =>    This Inner Loop Header: Depth=3
	global_load_dwordx2 v[36:37], v[4:5], off
	v_add_co_u32_e32 v4, vcc, 0x800, v4
	v_cmp_eq_u32_e64 s[12:13], s51, v34
	v_add_u32_e32 v35, 1, v7
	v_add_u32_e32 v7, 0x100, v7
	v_addc_co_u32_e32 v5, vcc, 0, v5, vcc
	v_cmp_lt_i32_e64 s[14:15], s86, v7
	s_waitcnt vmcnt(0)
	v_cmp_lt_f64_e64 s[42:43], v[2:3], |v[36:37]|
	v_and_b32_e32 v38, 0x7fffffff, v37
	s_or_b64 vcc, s[42:43], s[12:13]
	v_cndmask_b32_e32 v3, v3, v38, vcc
	v_cndmask_b32_e32 v2, v2, v36, vcc
	s_or_b64 s[38:39], s[14:15], s[38:39]
	v_cndmask_b32_e32 v34, v34, v35, vcc
	s_andn2_b64 exec, exec, s[38:39]
	s_cbranch_execnz .LBB20_191
; %bb.192:                              ;   in Loop: Header=BB20_27 Depth=2
	s_or_b64 exec, exec, s[38:39]
.LBB20_193:                             ;   in Loop: Header=BB20_27 Depth=2
	s_or_b64 exec, exec, s[22:23]
	v_add_u32_e32 v7, v50, v1
	ds_write_b64 v49, v[2:3]
	ds_write_b32 v50, v34 offset:4096
	s_waitcnt lgkmcnt(0)
	s_barrier
	s_and_saveexec_b64 s[14:15], s[2:3]
	s_cbranch_execz .LBB20_199
; %bb.194:                              ;   in Loop: Header=BB20_27 Depth=2
	ds_read_b64 v[4:5], v7 offset:1024
	ds_read_b32 v35, v48 offset:512
	s_waitcnt lgkmcnt(0)
	v_cmp_lt_f64_e64 s[22:23], v[2:3], v[4:5]
	v_cmp_nlt_f64_e32 vcc, v[2:3], v[4:5]
	s_and_saveexec_b64 s[38:39], vcc
; %bb.195:                              ;   in Loop: Header=BB20_27 Depth=2
	v_cmp_eq_f64_e32 vcc, v[2:3], v[4:5]
	v_cmp_gt_i32_e64 s[12:13], v34, v35
	s_and_b64 s[12:13], vcc, s[12:13]
	s_andn2_b64 s[22:23], s[22:23], exec
	s_and_b64 s[12:13], s[12:13], exec
	s_or_b64 s[22:23], s[22:23], s[12:13]
; %bb.196:                              ;   in Loop: Header=BB20_27 Depth=2
	s_or_b64 exec, exec, s[38:39]
	s_and_saveexec_b64 s[12:13], s[22:23]
	s_cbranch_execz .LBB20_198
; %bb.197:                              ;   in Loop: Header=BB20_27 Depth=2
	v_mov_b32_e32 v34, v35
	v_pk_mov_b32 v[2:3], v[4:5], v[4:5] op_sel:[0,1]
	ds_write_b64 v49, v[4:5]
	ds_write_b32 v50, v35 offset:4096
.LBB20_198:                             ;   in Loop: Header=BB20_27 Depth=2
	s_or_b64 exec, exec, s[12:13]
.LBB20_199:                             ;   in Loop: Header=BB20_27 Depth=2
	s_or_b64 exec, exec, s[14:15]
	s_waitcnt lgkmcnt(0)
	s_barrier
	s_and_saveexec_b64 s[22:23], s[4:5]
	s_cbranch_execz .LBB20_226
; %bb.200:                              ;   in Loop: Header=BB20_27 Depth=2
	ds_read_b64 v[4:5], v7 offset:512
	ds_read_b32 v35, v48 offset:256
	s_waitcnt lgkmcnt(0)
	v_cmp_lt_f64_e64 s[14:15], v[2:3], v[4:5]
	v_cmp_nlt_f64_e32 vcc, v[2:3], v[4:5]
	s_and_saveexec_b64 s[38:39], vcc
; %bb.201:                              ;   in Loop: Header=BB20_27 Depth=2
	v_cmp_eq_f64_e32 vcc, v[2:3], v[4:5]
	v_cmp_gt_i32_e64 s[12:13], v34, v35
	s_and_b64 s[12:13], vcc, s[12:13]
	s_andn2_b64 s[14:15], s[14:15], exec
	s_and_b64 s[12:13], s[12:13], exec
	s_or_b64 s[14:15], s[14:15], s[12:13]
; %bb.202:                              ;   in Loop: Header=BB20_27 Depth=2
	s_or_b64 exec, exec, s[38:39]
	s_and_saveexec_b64 s[12:13], s[14:15]
	s_cbranch_execz .LBB20_204
; %bb.203:                              ;   in Loop: Header=BB20_27 Depth=2
	v_pk_mov_b32 v[2:3], v[4:5], v[4:5] op_sel:[0,1]
	v_mov_b32_e32 v34, v35
	ds_write_b64 v49, v[4:5]
	ds_write_b32 v50, v35 offset:4096
.LBB20_204:                             ;   in Loop: Header=BB20_27 Depth=2
	s_or_b64 exec, exec, s[12:13]
	ds_read_b64 v[4:5], v7 offset:256
	ds_read_b32 v35, v48 offset:128
	s_waitcnt lgkmcnt(0)
	v_cmp_lt_f64_e64 s[14:15], v[2:3], v[4:5]
	v_cmp_nlt_f64_e32 vcc, v[2:3], v[4:5]
	s_and_saveexec_b64 s[38:39], vcc
; %bb.205:                              ;   in Loop: Header=BB20_27 Depth=2
	v_cmp_eq_f64_e32 vcc, v[2:3], v[4:5]
	v_cmp_gt_i32_e64 s[12:13], v34, v35
	s_and_b64 s[12:13], vcc, s[12:13]
	s_andn2_b64 s[14:15], s[14:15], exec
	s_and_b64 s[12:13], s[12:13], exec
	s_or_b64 s[14:15], s[14:15], s[12:13]
; %bb.206:                              ;   in Loop: Header=BB20_27 Depth=2
	s_or_b64 exec, exec, s[38:39]
	s_and_saveexec_b64 s[12:13], s[14:15]
	s_cbranch_execz .LBB20_208
; %bb.207:                              ;   in Loop: Header=BB20_27 Depth=2
	v_pk_mov_b32 v[2:3], v[4:5], v[4:5] op_sel:[0,1]
	v_mov_b32_e32 v34, v35
	ds_write_b64 v49, v[4:5]
	ds_write_b32 v50, v35 offset:4096
.LBB20_208:                             ;   in Loop: Header=BB20_27 Depth=2
	s_or_b64 exec, exec, s[12:13]
	;; [unrolled: 24-line block ×6, first 2 shown]
	ds_read_b64 v[4:5], v7 offset:8
	ds_read_b32 v35, v48 offset:4
	s_waitcnt lgkmcnt(0)
	v_cmp_eq_f64_e64 s[12:13], v[2:3], v[4:5]
	v_cmp_gt_i32_e64 s[14:15], v34, v35
	v_cmp_lt_f64_e32 vcc, v[2:3], v[4:5]
	s_and_b64 s[12:13], s[12:13], s[14:15]
	s_or_b64 s[12:13], vcc, s[12:13]
	s_and_b64 exec, exec, s[12:13]
	s_cbranch_execz .LBB20_226
; %bb.225:                              ;   in Loop: Header=BB20_27 Depth=2
	ds_write_b64 v49, v[4:5]
	ds_write_b32 v50, v35 offset:4096
.LBB20_226:                             ;   in Loop: Header=BB20_27 Depth=2
	s_or_b64 exec, exec, s[22:23]
	v_pk_mov_b32 v[2:3], 0, 0
	s_and_saveexec_b64 s[14:15], s[8:9]
	s_cbranch_execz .LBB20_230
; %bb.227:                              ;   in Loop: Header=BB20_27 Depth=2
	s_mov_b64 s[22:23], 0
	v_pk_mov_b32 v[2:3], 0, 0
	v_pk_mov_b32 v[4:5], v[8:9], v[8:9] op_sel:[0,1]
	v_mov_b32_e32 v34, v0
.LBB20_228:                             ;   Parent Loop BB20_17 Depth=1
                                        ;     Parent Loop BB20_27 Depth=2
                                        ; =>    This Inner Loop Header: Depth=3
	global_load_dwordx2 v[36:37], v[4:5], off
	v_add_u32_e32 v34, 0x100, v34
	v_add_co_u32_e32 v4, vcc, 0x800, v4
	v_cmp_lt_i32_e64 s[12:13], s86, v34
	v_addc_co_u32_e32 v5, vcc, 0, v5, vcc
	s_or_b64 s[22:23], s[12:13], s[22:23]
	s_waitcnt vmcnt(0)
	v_fmac_f64_e32 v[2:3], v[36:37], v[36:37]
	s_andn2_b64 exec, exec, s[22:23]
	s_cbranch_execnz .LBB20_228
; %bb.229:                              ;   in Loop: Header=BB20_27 Depth=2
	s_or_b64 exec, exec, s[22:23]
.LBB20_230:                             ;   in Loop: Header=BB20_27 Depth=2
	s_or_b64 exec, exec, s[14:15]
	ds_write_b64 v7, v[2:3] offset:2048
	s_waitcnt lgkmcnt(0)
	s_barrier
	s_and_saveexec_b64 s[12:13], s[2:3]
	s_cbranch_execz .LBB20_232
; %bb.231:                              ;   in Loop: Header=BB20_27 Depth=2
	ds_read_b64 v[4:5], v7 offset:3072
	s_waitcnt lgkmcnt(0)
	v_add_f64 v[2:3], v[2:3], v[4:5]
.LBB20_232:                             ;   in Loop: Header=BB20_27 Depth=2
	s_or_b64 exec, exec, s[12:13]
	s_barrier
	s_and_saveexec_b64 s[12:13], s[2:3]
	s_cbranch_execz .LBB20_234
; %bb.233:                              ;   in Loop: Header=BB20_27 Depth=2
	ds_write_b64 v7, v[2:3] offset:2048
.LBB20_234:                             ;   in Loop: Header=BB20_27 Depth=2
	s_or_b64 exec, exec, s[12:13]
	s_waitcnt lgkmcnt(0)
	s_barrier
	s_and_saveexec_b64 s[12:13], s[4:5]
	s_cbranch_execz .LBB20_236
; %bb.235:                              ;   in Loop: Header=BB20_27 Depth=2
	ds_read2st64_b64 v[2:5], v7 offset0:4 offset1:5
	v_add_u32_e32 v34, 0x800, v7
	s_waitcnt lgkmcnt(0)
	v_add_f64 v[2:3], v[2:3], v[4:5]
	ds_write_b64 v7, v[2:3] offset:2048
	s_waitcnt vmcnt(0) lgkmcnt(0)
	buffer_wbinvl1_vol
	ds_read2_b64 v[2:5], v34 offset1:32
	s_waitcnt lgkmcnt(0)
	v_add_f64 v[2:3], v[2:3], v[4:5]
	ds_write_b64 v7, v[2:3] offset:2048
	s_waitcnt lgkmcnt(0)
	buffer_wbinvl1_vol
	ds_read2_b64 v[2:5], v34 offset1:16
	s_waitcnt lgkmcnt(0)
	v_add_f64 v[2:3], v[2:3], v[4:5]
	ds_write_b64 v7, v[2:3] offset:2048
	s_waitcnt lgkmcnt(0)
	;; [unrolled: 6-line block ×6, first 2 shown]
	buffer_wbinvl1_vol
.LBB20_236:                             ;   in Loop: Header=BB20_27 Depth=2
	s_or_b64 exec, exec, s[12:13]
	s_and_saveexec_b64 s[12:13], s[0:1]
	s_cbranch_execz .LBB20_238
; %bb.237:                              ;   in Loop: Header=BB20_27 Depth=2
	ds_read_b64 v[2:3], v54 offset:2048
	s_mov_b32 s10, 0
	s_brev_b32 s11, 8
	s_waitcnt lgkmcnt(0)
	v_cmp_gt_f64_e32 vcc, s[10:11], v[2:3]
	v_cndmask_b32_e64 v4, 0, 1, vcc
	v_lshlrev_b32_e32 v4, 8, v4
	v_ldexp_f64 v[2:3], v[2:3], v4
	v_rsq_f64_e32 v[4:5], v[2:3]
	s_and_b64 s[14:15], vcc, exec
	s_cselect_b32 s14, 0xffffff80, 0
	v_cmp_class_f64_e32 vcc, v[2:3], v51
	v_mul_f64 v[34:35], v[2:3], v[4:5]
	v_mul_f64 v[4:5], v[4:5], 0.5
	v_fma_f64 v[36:37], -v[4:5], v[34:35], 0.5
	v_fmac_f64_e32 v[34:35], v[34:35], v[36:37]
	v_fmac_f64_e32 v[4:5], v[4:5], v[36:37]
	v_fma_f64 v[36:37], -v[34:35], v[34:35], v[2:3]
	v_fmac_f64_e32 v[34:35], v[36:37], v[4:5]
	v_fma_f64 v[36:37], -v[34:35], v[34:35], v[2:3]
	v_fmac_f64_e32 v[34:35], v[36:37], v[4:5]
	v_ldexp_f64 v[4:5], v[34:35], s14
	v_cndmask_b32_e32 v3, v5, v3, vcc
	v_cndmask_b32_e32 v2, v4, v2, vcc
	ds_write_b64 v54, v[2:3] offset:2048
.LBB20_238:                             ;   in Loop: Header=BB20_27 Depth=2
	s_or_b64 exec, exec, s[12:13]
	s_waitcnt lgkmcnt(0)
	s_barrier
	ds_read_b32 v4, v54 offset:4096
	ds_read_b64 v[2:3], v54 offset:2048
	v_readlane_b32 s10, v64, 15
	v_mov_b32_e32 v7, s10
	v_readlane_b32 s10, v64, 14
	s_waitcnt lgkmcnt(0)
	v_ashrrev_i32_e32 v5, 31, v4
	v_lshlrev_b64 v[4:5], 3, v[4:5]
	v_add_co_u32_e32 v4, vcc, s10, v4
	v_addc_co_u32_e32 v5, vcc, v7, v5, vcc
	global_load_dwordx2 v[4:5], v[4:5], off
	s_barrier
	s_and_saveexec_b64 s[12:13], s[8:9]
	s_cbranch_execz .LBB20_241
; %bb.239:                              ;   in Loop: Header=BB20_27 Depth=2
	s_waitcnt vmcnt(0)
	v_cmp_nle_f64_e32 vcc, 0, v[4:5]
	s_and_b64 s[14:15], vcc, exec
	s_mov_b32 s10, 0xbff00000
	s_cselect_b32 s15, s10, 0x3ff00000
	s_mov_b32 s14, s17
	v_div_scale_f64 v[4:5], s[22:23], v[2:3], v[2:3], s[14:15]
	v_rcp_f64_e32 v[34:35], v[4:5]
	v_mov_b32_e32 v7, v0
	v_fma_f64 v[36:37], -v[4:5], v[34:35], 1.0
	v_fmac_f64_e32 v[34:35], v[34:35], v[36:37]
	v_fma_f64 v[36:37], -v[4:5], v[34:35], 1.0
	v_fmac_f64_e32 v[34:35], v[34:35], v[36:37]
	v_div_scale_f64 v[36:37], vcc, s[14:15], v[2:3], s[14:15]
	v_mul_f64 v[38:39], v[36:37], v[34:35]
	v_fma_f64 v[4:5], -v[4:5], v[38:39], v[36:37]
	s_nop 1
	v_div_fmas_f64 v[4:5], v[4:5], v[34:35], v[38:39]
	v_div_fixup_f64 v[2:3], v[4:5], v[2:3], s[14:15]
	s_mov_b64 s[14:15], 0
	v_pk_mov_b32 v[4:5], v[8:9], v[8:9] op_sel:[0,1]
.LBB20_240:                             ;   Parent Loop BB20_17 Depth=1
                                        ;     Parent Loop BB20_27 Depth=2
                                        ; =>    This Inner Loop Header: Depth=3
	global_load_dwordx2 v[34:35], v[4:5], off
	v_add_u32_e32 v7, 0x100, v7
	v_cmp_lt_i32_e32 vcc, s86, v7
	s_or_b64 s[14:15], vcc, s[14:15]
	s_waitcnt vmcnt(0)
	v_mul_f64 v[34:35], v[2:3], v[34:35]
	global_store_dwordx2 v[4:5], v[34:35], off
	v_add_co_u32_e32 v4, vcc, 0x800, v4
	v_addc_co_u32_e32 v5, vcc, 0, v5, vcc
	s_andn2_b64 exec, exec, s[14:15]
	s_cbranch_execnz .LBB20_240
.LBB20_241:                             ;   in Loop: Header=BB20_27 Depth=2
	s_or_b64 exec, exec, s[12:13]
	s_barrier
.LBB20_242:                             ;   in Loop: Header=BB20_27 Depth=2
	s_and_saveexec_b64 s[14:15], s[62:63]
	s_cbranch_execz .LBB20_26
; %bb.243:                              ;   in Loop: Header=BB20_27 Depth=2
	s_mov_b64 s[22:23], 0
	v_pk_mov_b32 v[2:3], v[32:33], v[32:33] op_sel:[0,1]
	v_mov_b32_e32 v7, v0
	s_branch .LBB20_245
.LBB20_244:                             ;   in Loop: Header=BB20_245 Depth=3
	s_or_b64 exec, exec, s[12:13]
	v_add_u32_e32 v34, s83, v7
	v_ashrrev_i32_e32 v35, 31, v34
	v_lshlrev_b64 v[34:35], 3, v[34:35]
	v_mov_b32_e32 v36, s56
	v_add_co_u32_e32 v34, vcc, s52, v34
	v_addc_co_u32_e32 v35, vcc, v36, v35, vcc
	v_add_u32_e32 v7, 0x100, v7
	v_add_co_u32_e32 v2, vcc, 0x800, v2
	v_cmp_le_i32_e64 s[12:13], s50, v7
	s_or_b64 s[22:23], s[12:13], s[22:23]
	v_addc_co_u32_e32 v3, vcc, 0, v3, vcc
	s_waitcnt vmcnt(0)
	global_store_dwordx2 v[34:35], v[4:5], off
	s_andn2_b64 exec, exec, s[22:23]
	s_cbranch_execz .LBB20_26
.LBB20_245:                             ;   Parent Loop BB20_17 Depth=1
                                        ;     Parent Loop BB20_27 Depth=2
                                        ; =>    This Inner Loop Header: Depth=3
	v_cmp_le_i32_e32 vcc, s82, v7
	v_cmp_gt_i32_e64 s[12:13], s84, v7
	s_and_b64 s[38:39], vcc, s[12:13]
	s_waitcnt vmcnt(0)
	v_pk_mov_b32 v[4:5], 0, 0
	s_and_saveexec_b64 s[12:13], s[38:39]
	s_cbranch_execz .LBB20_244
; %bb.246:                              ;   in Loop: Header=BB20_245 Depth=3
	global_load_dwordx2 v[4:5], v[2:3], off
	s_branch .LBB20_244
.LBB20_247:
	s_and_saveexec_b64 s[2:3], s[0:1]
	s_cbranch_execz .LBB20_249
; %bb.248:
	v_mov_b32_e32 v0, 0
	ds_read_b32 v1, v0
	v_readlane_b32 s0, v64, 0
	v_readlane_b32 s1, v64, 1
	s_add_u32 s0, s18, s0
	s_addc_u32 s1, s19, s1
	s_waitcnt lgkmcnt(0)
	s_nop 1
	global_store_dword v0, v1, s[0:1]
.LBB20_249:
	s_endpgm
	.section	.rodata,"a",@progbits
	.p2align	6, 0x0
	.amdhsa_kernel _ZN9rocsolver6v33100L12stein_kernelIddPdEEviPT0_lS4_lPiS4_lS5_lS5_lT1_iilS5_lS5_S4_S5_S3_S3_
		.amdhsa_group_segment_fixed_size 8
		.amdhsa_private_segment_fixed_size 0
		.amdhsa_kernarg_size 176
		.amdhsa_user_sgpr_count 6
		.amdhsa_user_sgpr_private_segment_buffer 1
		.amdhsa_user_sgpr_dispatch_ptr 0
		.amdhsa_user_sgpr_queue_ptr 0
		.amdhsa_user_sgpr_kernarg_segment_ptr 1
		.amdhsa_user_sgpr_dispatch_id 0
		.amdhsa_user_sgpr_flat_scratch_init 0
		.amdhsa_user_sgpr_kernarg_preload_length 0
		.amdhsa_user_sgpr_kernarg_preload_offset 0
		.amdhsa_user_sgpr_private_segment_size 0
		.amdhsa_uses_dynamic_stack 0
		.amdhsa_system_sgpr_private_segment_wavefront_offset 0
		.amdhsa_system_sgpr_workgroup_id_x 1
		.amdhsa_system_sgpr_workgroup_id_y 1
		.amdhsa_system_sgpr_workgroup_id_z 0
		.amdhsa_system_sgpr_workgroup_info 0
		.amdhsa_system_vgpr_workitem_id 0
		.amdhsa_next_free_vgpr 65
		.amdhsa_next_free_sgpr 96
		.amdhsa_accum_offset 68
		.amdhsa_reserve_vcc 1
		.amdhsa_reserve_flat_scratch 0
		.amdhsa_float_round_mode_32 0
		.amdhsa_float_round_mode_16_64 0
		.amdhsa_float_denorm_mode_32 3
		.amdhsa_float_denorm_mode_16_64 3
		.amdhsa_dx10_clamp 1
		.amdhsa_ieee_mode 1
		.amdhsa_fp16_overflow 0
		.amdhsa_tg_split 0
		.amdhsa_exception_fp_ieee_invalid_op 0
		.amdhsa_exception_fp_denorm_src 0
		.amdhsa_exception_fp_ieee_div_zero 0
		.amdhsa_exception_fp_ieee_overflow 0
		.amdhsa_exception_fp_ieee_underflow 0
		.amdhsa_exception_fp_ieee_inexact 0
		.amdhsa_exception_int_div_zero 0
	.end_amdhsa_kernel
	.section	.text._ZN9rocsolver6v33100L12stein_kernelIddPdEEviPT0_lS4_lPiS4_lS5_lS5_lT1_iilS5_lS5_S4_S5_S3_S3_,"axG",@progbits,_ZN9rocsolver6v33100L12stein_kernelIddPdEEviPT0_lS4_lPiS4_lS5_lS5_lT1_iilS5_lS5_S4_S5_S3_S3_,comdat
.Lfunc_end20:
	.size	_ZN9rocsolver6v33100L12stein_kernelIddPdEEviPT0_lS4_lPiS4_lS5_lS5_lT1_iilS5_lS5_S4_S5_S3_S3_, .Lfunc_end20-_ZN9rocsolver6v33100L12stein_kernelIddPdEEviPT0_lS4_lPiS4_lS5_lS5_lT1_iilS5_lS5_S4_S5_S3_S3_
                                        ; -- End function
	.section	.AMDGPU.csdata,"",@progbits
; Kernel info:
; codeLenInByte = 11260
; NumSgprs: 100
; NumVgprs: 65
; NumAgprs: 0
; TotalNumVgprs: 65
; ScratchSize: 0
; MemoryBound: 1
; FloatMode: 240
; IeeeMode: 1
; LDSByteSize: 8 bytes/workgroup (compile time only)
; SGPRBlocks: 12
; VGPRBlocks: 8
; NumSGPRsForWavesPerEU: 100
; NumVGPRsForWavesPerEU: 65
; AccumOffset: 68
; Occupancy: 7
; WaveLimiterHint : 1
; COMPUTE_PGM_RSRC2:SCRATCH_EN: 0
; COMPUTE_PGM_RSRC2:USER_SGPR: 6
; COMPUTE_PGM_RSRC2:TRAP_HANDLER: 0
; COMPUTE_PGM_RSRC2:TGID_X_EN: 1
; COMPUTE_PGM_RSRC2:TGID_Y_EN: 1
; COMPUTE_PGM_RSRC2:TGID_Z_EN: 0
; COMPUTE_PGM_RSRC2:TIDIG_COMP_CNT: 0
; COMPUTE_PGM_RSRC3_GFX90A:ACCUM_OFFSET: 16
; COMPUTE_PGM_RSRC3_GFX90A:TG_SPLIT: 0
	.section	.text._ZN9rocsolver6v33100L15syevx_sort_eigsIddPdEEviPiPT0_lT1_iilS3_lS3_S3_,"axG",@progbits,_ZN9rocsolver6v33100L15syevx_sort_eigsIddPdEEviPiPT0_lT1_iilS3_lS3_S3_,comdat
	.globl	_ZN9rocsolver6v33100L15syevx_sort_eigsIddPdEEviPiPT0_lT1_iilS3_lS3_S3_ ; -- Begin function _ZN9rocsolver6v33100L15syevx_sort_eigsIddPdEEviPiPT0_lT1_iilS3_lS3_S3_
	.p2align	8
	.type	_ZN9rocsolver6v33100L15syevx_sort_eigsIddPdEEviPiPT0_lT1_iilS3_lS3_S3_,@function
_ZN9rocsolver6v33100L15syevx_sort_eigsIddPdEEviPiPT0_lT1_iilS3_lS3_S3_: ; @_ZN9rocsolver6v33100L15syevx_sort_eigsIddPdEEviPiPT0_lT1_iilS3_lS3_S3_
; %bb.0:
	s_add_u32 flat_scratch_lo, s6, s10
	s_addc_u32 flat_scratch_hi, s7, 0
	s_mov_b32 s34, s9
	s_load_dwordx8 s[36:43], s[4:5], 0x8
	s_load_dwordx8 s[44:51], s[4:5], 0x30
	s_load_dwordx2 s[8:9], s[4:5], 0x50
	s_add_u32 s0, s0, s10
	s_mov_b32 s35, 0
	s_addc_u32 s1, s1, 0
	s_mov_b64 s[26:27], s[4:5]
	s_lshl_b64 s[4:5], s[34:35], 2
	s_waitcnt lgkmcnt(0)
	s_add_u32 s6, s36, s4
	s_addc_u32 s7, s37, s5
	s_load_dword s35, s[6:7], 0x0
	s_add_u32 s4, s50, s4
	s_addc_u32 s5, s51, s5
	s_mov_b64 s[36:37], 0
	s_cmp_eq_u64 s[46:47], 0
	s_mov_b64 s[28:29], 0
	s_mov_b32 s32, 0
	s_cbranch_scc1 .LBB21_2
; %bb.1:
	s_mul_i32 s6, s34, s49
	s_mul_hi_u32 s7, s34, s48
	s_add_i32 s7, s7, s6
	s_mul_i32 s6, s34, s48
	s_lshl_b64 s[6:7], s[6:7], 2
	s_add_u32 s28, s46, s6
	s_addc_u32 s29, s47, s7
.LBB21_2:
	s_load_dword s52, s[26:27], 0x0
	s_mov_b64 s[6:7], -1
	s_waitcnt lgkmcnt(0)
	s_cmp_le_i32 s35, s52
	s_cbranch_scc1 .LBB21_6
; %bb.3:
	s_and_b64 vcc, exec, s[6:7]
	s_cbranch_vccnz .LBB21_134
.LBB21_4:
	s_and_saveexec_b64 s[4:5], s[36:37]
	s_cbranch_execnz .LBB21_135
.LBB21_5:
	s_endpgm
.LBB21_6:
	s_cmp_lg_u64 s[8:9], 0
	s_mov_b64 s[46:47], 0
	s_cbranch_scc0 .LBB21_19
; %bb.7:
	s_load_dwordx2 s[6:7], s[26:27], 0x64
	s_load_dword s53, s[4:5], 0x0
	s_mul_i32 s10, s34, s52
	s_mov_b32 s11, 0
	s_lshl_b64 s[10:11], s[10:11], 2
	s_waitcnt lgkmcnt(0)
	s_and_b32 s7, s7, 0xffff
	s_lshr_b32 s5, s6, 16
	s_and_b32 s14, s6, 0xffff
	s_and_b32 s4, s7, 0xffff
	s_add_u32 s50, s8, s10
	s_addc_u32 s54, s9, s11
	s_cmp_gt_i32 s35, 0
	s_cselect_b64 s[6:7], -1, 0
	s_cmp_lg_u64 s[38:39], 0
	s_cselect_b64 s[12:13], -1, 0
	s_and_b64 s[6:7], s[12:13], s[6:7]
	v_bfe_u32 v1, v0, 10, 10
	v_bfe_u32 v4, v0, 20, 10
	s_mul_i32 s5, s5, s14
	v_and_b32_e32 v41, 0x3ff, v0
	s_and_b64 vcc, exec, s[6:7]
	v_mul_u32_u24_e32 v42, s14, v1
	v_mul_lo_u32 v43, s5, v4
	s_mul_i32 s51, s5, s4
	s_barrier
	s_cbranch_vccz .LBB21_20
; %bb.8:
	v_add3_u32 v0, v42, v41, v43
	s_mul_i32 s55, s5, s4
	v_cmp_gt_u32_e32 vcc, s35, v0
	s_barrier
	s_and_saveexec_b64 s[4:5], vcc
	s_cbranch_execz .LBB21_11
; %bb.9:
	s_mov_b64 s[6:7], 0
	v_mov_b32_e32 v3, 0
	v_mov_b32_e32 v5, s54
	;; [unrolled: 1-line block ×3, first 2 shown]
.LBB21_10:                              ; =>This Inner Loop Header: Depth=1
	v_lshlrev_b64 v[6:7], 2, v[2:3]
	v_add_co_u32_e32 v6, vcc, s50, v6
	v_addc_co_u32_e32 v7, vcc, v5, v7, vcc
	global_store_dword v[6:7], v2, off
	v_add_u32_e32 v2, s55, v2
	v_cmp_le_u32_e32 vcc, s35, v2
	s_or_b64 s[6:7], vcc, s[6:7]
	s_andn2_b64 exec, exec, s[6:7]
	s_cbranch_execnz .LBB21_10
.LBB21_11:
	s_or_b64 exec, exec, s[4:5]
	s_mul_i32 s4, s34, s41
	s_mul_hi_u32 s5, s34, s40
	s_add_i32 s5, s5, s4
	s_mul_i32 s4, s34, s40
	s_lshl_b64 s[12:13], s[4:5], 3
	v_or3_b32 v1, v1, v4, v41
	s_add_u32 s6, s38, s12
	v_cmp_eq_u32_e32 vcc, 0, v1
	s_addc_u32 s7, s39, s13
	s_barrier
	s_and_saveexec_b64 s[4:5], vcc
	s_cbranch_execz .LBB21_85
; %bb.12:
	s_cmpk_lt_i32 s35, 0x2be
	s_cbranch_scc1 .LBB21_22
; %bb.13:
	s_add_u32 s14, s8, s10
	s_addc_u32 s15, s9, s11
	s_add_u32 s14, s14, 0xaf4
	s_addc_u32 s15, s15, 0
	s_mov_b64 s[16:17], 0x2bd
	s_mov_b32 s19, 0
	v_mov_b32_e32 v1, 0
	v_mov_b32_e32 v6, 0x1000
	s_mov_b64 s[20:21], s[6:7]
	s_branch .LBB21_15
.LBB21_14:                              ;   in Loop: Header=BB21_15 Depth=1
	s_lshl_b64 s[22:23], s[36:37], 3
	s_add_u32 s22, s6, s22
	s_addc_u32 s23, s7, s23
	s_waitcnt vmcnt(1)
	global_store_dwordx2 v1, v[2:3], s[22:23]
	s_lshl_b64 s[22:23], s[36:37], 2
	s_add_u32 s22, s50, s22
	s_addc_u32 s23, s54, s23
	s_add_u32 s16, s16, 1
	s_addc_u32 s17, s17, 0
	;; [unrolled: 2-line block ×4, first 2 shown]
	s_cmp_ge_i32 s16, s35
	s_waitcnt vmcnt(1)
	global_store_dword v1, v7, s[22:23]
	s_cbranch_scc1 .LBB21_22
.LBB21_15:                              ; =>This Loop Header: Depth=1
                                        ;     Child Loop BB21_17 Depth 2
	s_mov_b32 s18, s16
	s_lshl_b64 s[22:23], s[18:19], 3
	s_add_u32 s22, s6, s22
	s_addc_u32 s23, s7, s23
	s_lshl_b64 s[24:25], s[18:19], 2
	s_add_u32 s24, s50, s24
	s_addc_u32 s25, s54, s25
	global_load_dwordx2 v[2:3], v1, s[22:23]
	global_load_dword v7, v1, s[24:25]
	s_cmpk_lt_u32 s16, 0x2bd
	s_mov_b64 s[36:37], s[18:19]
	s_mov_b64 s[24:25], s[14:15]
	s_mov_b64 s[22:23], s[20:21]
	s_mov_b64 s[30:31], s[16:17]
	s_cbranch_scc0 .LBB21_17
	s_branch .LBB21_14
.LBB21_16:                              ;   in Loop: Header=BB21_17 Depth=2
	global_load_dword v8, v1, s[24:25] offset:-2804
	s_add_u32 s46, s24, 0xfffff50c
	s_addc_u32 s47, s25, -1
	s_add_u32 s36, s30, 0xfffffd43
	s_addc_u32 s37, s31, -1
	global_store_dwordx2 v6, v[4:5], s[22:23] offset:1512
	s_add_u32 s22, s22, 0xffffea18
	s_addc_u32 s23, s23, -1
	s_cmpk_lt_i32 s30, 0x57a
	s_mov_b64 s[30:31], s[36:37]
	s_cselect_b64 s[40:41], -1, 0
	s_waitcnt vmcnt(1)
	global_store_dword v1, v8, s[24:25]
	s_mov_b64 s[24:25], s[46:47]
	s_andn2_b64 vcc, exec, s[40:41]
	s_cbranch_vccz .LBB21_14
.LBB21_17:                              ;   Parent Loop BB21_15 Depth=1
                                        ; =>  This Inner Loop Header: Depth=2
	global_load_dwordx2 v[4:5], v1, s[22:23]
	s_mov_b64 s[40:41], -1
	s_waitcnt vmcnt(0)
	v_cmp_ngt_f64_e32 vcc, v[4:5], v[2:3]
	s_cbranch_vccz .LBB21_16
; %bb.18:                               ;   in Loop: Header=BB21_17 Depth=2
	s_mov_b64 s[36:37], s[30:31]
                                        ; implicit-def: $sgpr30_sgpr31
                                        ; implicit-def: $sgpr22_sgpr23
                                        ; implicit-def: $sgpr24_sgpr25
	s_andn2_b64 vcc, exec, s[40:41]
	s_cbranch_vccnz .LBB21_17
	s_branch .LBB21_14
.LBB21_19:
	s_cbranch_execnz .LBB21_132
	s_branch .LBB21_133
.LBB21_20:
                                        ; implicit-def: $vgpr0
                                        ; implicit-def: $sgpr55
	s_cbranch_execnz .LBB21_100
.LBB21_21:
	s_mov_b32 s51, s55
	s_and_saveexec_b64 s[38:39], s[46:47]
	s_cbranch_execnz .LBB21_101
	s_branch .LBB21_131
.LBB21_22:
	s_cmpk_lt_i32 s35, 0x12e
	s_cbranch_scc1 .LBB21_31
; %bb.23:
	s_add_u32 s14, s8, s10
	s_addc_u32 s15, s9, s11
	s_add_u32 s14, s14, 0x4b4
	s_addc_u32 s15, s15, 0
	s_mov_b64 s[16:17], 0x12d
	s_mov_b32 s19, 0
	v_mov_b32_e32 v1, 0
	s_mov_b64 s[20:21], s[6:7]
	s_branch .LBB21_25
.LBB21_24:                              ;   in Loop: Header=BB21_25 Depth=1
	s_lshl_b64 s[22:23], s[36:37], 3
	s_add_u32 s22, s6, s22
	s_addc_u32 s23, s7, s23
	s_waitcnt vmcnt(1)
	global_store_dwordx2 v1, v[2:3], s[22:23]
	s_lshl_b64 s[22:23], s[36:37], 2
	s_add_u32 s22, s50, s22
	s_addc_u32 s23, s54, s23
	s_add_u32 s16, s16, 1
	s_addc_u32 s17, s17, 0
	;; [unrolled: 2-line block ×4, first 2 shown]
	s_cmp_lt_i32 s16, s35
	s_waitcnt vmcnt(1)
	global_store_dword v1, v6, s[22:23]
	s_cbranch_scc0 .LBB21_31
.LBB21_25:                              ; =>This Loop Header: Depth=1
                                        ;     Child Loop BB21_27 Depth 2
	s_mov_b32 s18, s16
	s_lshl_b64 s[22:23], s[18:19], 3
	s_add_u32 s22, s6, s22
	s_addc_u32 s23, s7, s23
	s_lshl_b64 s[24:25], s[18:19], 2
	s_add_u32 s24, s50, s24
	s_addc_u32 s25, s54, s25
	global_load_dwordx2 v[2:3], v1, s[22:23]
	global_load_dword v6, v1, s[24:25]
	s_cmpk_lt_u32 s16, 0x12d
	s_mov_b64 s[36:37], s[18:19]
	s_mov_b64 s[22:23], s[20:21]
	;; [unrolled: 1-line block ×4, first 2 shown]
	s_cbranch_scc0 .LBB21_27
	s_branch .LBB21_24
.LBB21_26:                              ;   in Loop: Header=BB21_27 Depth=2
	global_load_dword v7, v1, s[24:25] offset:-1204
	s_add_u32 s36, s24, 0xfffffb4c
	s_addc_u32 s37, s25, -1
	s_add_u32 s46, s30, 0xfffffed3
	s_addc_u32 s47, s31, -1
	global_store_dwordx2 v1, v[4:5], s[22:23] offset:2408
	s_add_u32 s22, s22, 0xfffff698
	s_addc_u32 s23, s23, -1
	s_cmpk_lt_i32 s30, 0x25a
	s_mov_b64 s[40:41], 0
	s_mov_b64 s[30:31], s[46:47]
	s_cselect_b64 s[48:49], -1, 0
	s_waitcnt vmcnt(1)
	global_store_dword v1, v7, s[24:25]
	s_mov_b64 s[24:25], s[36:37]
                                        ; implicit-def: $sgpr36_sgpr37
	s_andn2_b64 vcc, exec, s[48:49]
	s_cbranch_vccz .LBB21_29
.LBB21_27:                              ;   Parent Loop BB21_25 Depth=1
                                        ; =>  This Inner Loop Header: Depth=2
	global_load_dwordx2 v[4:5], v1, s[22:23]
	s_mov_b64 s[40:41], -1
	s_waitcnt vmcnt(0)
	v_cmp_ngt_f64_e32 vcc, v[4:5], v[2:3]
	s_cbranch_vccz .LBB21_26
; %bb.28:                               ;   in Loop: Header=BB21_25 Depth=1
                                        ; implicit-def: $sgpr24_sgpr25
                                        ; implicit-def: $sgpr22_sgpr23
	s_mov_b64 s[36:37], s[30:31]
                                        ; implicit-def: $sgpr46_sgpr47
.LBB21_29:                              ;   in Loop: Header=BB21_25 Depth=1
	s_andn2_b64 vcc, exec, s[40:41]
	s_cbranch_vccz .LBB21_24
; %bb.30:                               ;   in Loop: Header=BB21_25 Depth=1
	s_bfe_i64 s[36:37], s[46:47], 0x200000
	s_branch .LBB21_24
.LBB21_31:
	s_cmpk_lt_i32 s35, 0x85
	s_cbranch_scc1 .LBB21_40
; %bb.32:
	s_add_u32 s14, s8, s10
	s_addc_u32 s15, s9, s11
	s_add_u32 s14, s14, 0x210
	s_addc_u32 s15, s15, 0
	s_mov_b64 s[16:17], 0x84
	s_mov_b32 s19, 0
	v_mov_b32_e32 v1, 0
	s_mov_b64 s[20:21], s[6:7]
	s_branch .LBB21_34
.LBB21_33:                              ;   in Loop: Header=BB21_34 Depth=1
	s_lshl_b64 s[22:23], s[36:37], 3
	s_add_u32 s22, s6, s22
	s_addc_u32 s23, s7, s23
	s_waitcnt vmcnt(1)
	global_store_dwordx2 v1, v[2:3], s[22:23]
	s_lshl_b64 s[22:23], s[36:37], 2
	s_add_u32 s22, s50, s22
	s_addc_u32 s23, s54, s23
	s_add_u32 s16, s16, 1
	s_addc_u32 s17, s17, 0
	;; [unrolled: 2-line block ×4, first 2 shown]
	s_cmp_lt_i32 s16, s35
	s_waitcnt vmcnt(1)
	global_store_dword v1, v6, s[22:23]
	s_cbranch_scc0 .LBB21_40
.LBB21_34:                              ; =>This Loop Header: Depth=1
                                        ;     Child Loop BB21_36 Depth 2
	s_mov_b32 s18, s16
	s_lshl_b64 s[22:23], s[18:19], 3
	s_add_u32 s22, s6, s22
	s_addc_u32 s23, s7, s23
	s_lshl_b64 s[24:25], s[18:19], 2
	s_add_u32 s24, s50, s24
	s_addc_u32 s25, s54, s25
	global_load_dwordx2 v[2:3], v1, s[22:23]
	global_load_dword v6, v1, s[24:25]
	s_cmpk_lt_u32 s16, 0x84
	s_mov_b64 s[36:37], s[18:19]
	s_mov_b64 s[22:23], s[20:21]
	;; [unrolled: 1-line block ×4, first 2 shown]
	s_cbranch_scc0 .LBB21_36
	s_branch .LBB21_33
.LBB21_35:                              ;   in Loop: Header=BB21_36 Depth=2
	global_load_dword v7, v1, s[24:25] offset:-528
	s_add_u32 s36, s24, 0xfffffdf0
	s_addc_u32 s37, s25, -1
	s_add_u32 s46, s30, 0xffffff7c
	s_addc_u32 s47, s31, -1
	global_store_dwordx2 v1, v[4:5], s[22:23] offset:1056
	s_add_u32 s22, s22, 0xfffffbe0
	s_addc_u32 s23, s23, -1
	s_cmpk_lt_i32 s30, 0x108
	s_mov_b64 s[40:41], 0
	s_mov_b64 s[30:31], s[46:47]
	s_cselect_b64 s[48:49], -1, 0
	s_waitcnt vmcnt(1)
	global_store_dword v1, v7, s[24:25]
	s_mov_b64 s[24:25], s[36:37]
                                        ; implicit-def: $sgpr36_sgpr37
	s_andn2_b64 vcc, exec, s[48:49]
	s_cbranch_vccz .LBB21_38
.LBB21_36:                              ;   Parent Loop BB21_34 Depth=1
                                        ; =>  This Inner Loop Header: Depth=2
	global_load_dwordx2 v[4:5], v1, s[22:23]
	s_mov_b64 s[40:41], -1
	s_waitcnt vmcnt(0)
	v_cmp_ngt_f64_e32 vcc, v[4:5], v[2:3]
	s_cbranch_vccz .LBB21_35
; %bb.37:                               ;   in Loop: Header=BB21_34 Depth=1
                                        ; implicit-def: $sgpr24_sgpr25
                                        ; implicit-def: $sgpr22_sgpr23
	s_mov_b64 s[36:37], s[30:31]
                                        ; implicit-def: $sgpr46_sgpr47
.LBB21_38:                              ;   in Loop: Header=BB21_34 Depth=1
	s_andn2_b64 vcc, exec, s[40:41]
	s_cbranch_vccz .LBB21_33
; %bb.39:                               ;   in Loop: Header=BB21_34 Depth=1
	s_bfe_i64 s[36:37], s[46:47], 0x200000
	s_branch .LBB21_33
.LBB21_40:
	s_cmp_lt_i32 s35, 58
	s_cbranch_scc1 .LBB21_49
; %bb.41:
	s_add_u32 s14, s8, s10
	s_addc_u32 s15, s9, s11
	s_add_u32 s14, s14, 0xe4
	s_addc_u32 s15, s15, 0
	s_mov_b64 s[16:17], 57
	s_mov_b32 s19, 0
	v_mov_b32_e32 v1, 0
	s_mov_b64 s[20:21], s[6:7]
	s_branch .LBB21_43
.LBB21_42:                              ;   in Loop: Header=BB21_43 Depth=1
	s_lshl_b64 s[22:23], s[36:37], 3
	s_add_u32 s22, s6, s22
	s_addc_u32 s23, s7, s23
	s_waitcnt vmcnt(1)
	global_store_dwordx2 v1, v[2:3], s[22:23]
	s_lshl_b64 s[22:23], s[36:37], 2
	s_add_u32 s22, s50, s22
	s_addc_u32 s23, s54, s23
	s_add_u32 s16, s16, 1
	s_addc_u32 s17, s17, 0
	;; [unrolled: 2-line block ×4, first 2 shown]
	s_cmp_lt_i32 s16, s35
	s_waitcnt vmcnt(1)
	global_store_dword v1, v6, s[22:23]
	s_cbranch_scc0 .LBB21_49
.LBB21_43:                              ; =>This Loop Header: Depth=1
                                        ;     Child Loop BB21_45 Depth 2
	s_mov_b32 s18, s16
	s_lshl_b64 s[22:23], s[18:19], 3
	s_add_u32 s22, s6, s22
	s_addc_u32 s23, s7, s23
	s_lshl_b64 s[24:25], s[18:19], 2
	s_add_u32 s24, s50, s24
	s_addc_u32 s25, s54, s25
	global_load_dwordx2 v[2:3], v1, s[22:23]
	global_load_dword v6, v1, s[24:25]
	s_cmp_lt_u32 s16, 57
	s_mov_b64 s[36:37], s[18:19]
	s_mov_b64 s[22:23], s[20:21]
	;; [unrolled: 1-line block ×4, first 2 shown]
	s_cbranch_scc0 .LBB21_45
	s_branch .LBB21_42
.LBB21_44:                              ;   in Loop: Header=BB21_45 Depth=2
	global_load_dword v7, v1, s[24:25] offset:-228
	s_add_u32 s36, s24, 0xffffff1c
	s_addc_u32 s37, s25, -1
	s_add_u32 s46, s30, 0xffffffc7
	s_addc_u32 s47, s31, -1
	global_store_dwordx2 v1, v[4:5], s[22:23] offset:456
	s_add_u32 s22, s22, 0xfffffe38
	s_addc_u32 s23, s23, -1
	s_cmpk_lt_i32 s30, 0x72
	s_mov_b64 s[40:41], 0
	s_mov_b64 s[30:31], s[46:47]
	s_cselect_b64 s[48:49], -1, 0
	s_waitcnt vmcnt(1)
	global_store_dword v1, v7, s[24:25]
	s_mov_b64 s[24:25], s[36:37]
                                        ; implicit-def: $sgpr36_sgpr37
	s_andn2_b64 vcc, exec, s[48:49]
	s_cbranch_vccz .LBB21_47
.LBB21_45:                              ;   Parent Loop BB21_43 Depth=1
                                        ; =>  This Inner Loop Header: Depth=2
	global_load_dwordx2 v[4:5], v1, s[22:23]
	s_mov_b64 s[40:41], -1
	s_waitcnt vmcnt(0)
	v_cmp_ngt_f64_e32 vcc, v[4:5], v[2:3]
	s_cbranch_vccz .LBB21_44
; %bb.46:                               ;   in Loop: Header=BB21_43 Depth=1
                                        ; implicit-def: $sgpr24_sgpr25
                                        ; implicit-def: $sgpr22_sgpr23
	s_mov_b64 s[36:37], s[30:31]
                                        ; implicit-def: $sgpr46_sgpr47
.LBB21_47:                              ;   in Loop: Header=BB21_43 Depth=1
	s_andn2_b64 vcc, exec, s[40:41]
	s_cbranch_vccz .LBB21_42
; %bb.48:                               ;   in Loop: Header=BB21_43 Depth=1
	s_bfe_i64 s[36:37], s[46:47], 0x200000
	s_branch .LBB21_42
.LBB21_49:
	s_cmp_lt_i32 s35, 24
	s_cbranch_scc1 .LBB21_58
; %bb.50:
	s_add_u32 s14, s8, s10
	s_addc_u32 s15, s9, s11
	s_add_u32 s14, s14, 0x5c
	s_addc_u32 s15, s15, 0
	s_mov_b64 s[16:17], 23
	s_mov_b32 s19, 0
	v_mov_b32_e32 v1, 0
	s_mov_b64 s[20:21], s[6:7]
	s_branch .LBB21_52
.LBB21_51:                              ;   in Loop: Header=BB21_52 Depth=1
	s_lshl_b64 s[22:23], s[36:37], 3
	s_add_u32 s22, s6, s22
	s_addc_u32 s23, s7, s23
	s_waitcnt vmcnt(1)
	global_store_dwordx2 v1, v[2:3], s[22:23]
	s_lshl_b64 s[22:23], s[36:37], 2
	s_add_u32 s22, s50, s22
	s_addc_u32 s23, s54, s23
	s_add_u32 s16, s16, 1
	s_addc_u32 s17, s17, 0
	;; [unrolled: 2-line block ×4, first 2 shown]
	s_cmp_lt_i32 s16, s35
	s_waitcnt vmcnt(1)
	global_store_dword v1, v6, s[22:23]
	s_cbranch_scc0 .LBB21_58
.LBB21_52:                              ; =>This Loop Header: Depth=1
                                        ;     Child Loop BB21_54 Depth 2
	s_mov_b32 s18, s16
	s_lshl_b64 s[22:23], s[18:19], 3
	s_add_u32 s22, s6, s22
	s_addc_u32 s23, s7, s23
	s_lshl_b64 s[24:25], s[18:19], 2
	s_add_u32 s24, s50, s24
	s_addc_u32 s25, s54, s25
	global_load_dwordx2 v[2:3], v1, s[22:23]
	global_load_dword v6, v1, s[24:25]
	s_cmp_lt_u32 s16, 23
	s_mov_b64 s[36:37], s[18:19]
	s_mov_b64 s[22:23], s[20:21]
	s_mov_b64 s[24:25], s[14:15]
	s_mov_b64 s[30:31], s[16:17]
	s_cbranch_scc0 .LBB21_54
	s_branch .LBB21_51
.LBB21_53:                              ;   in Loop: Header=BB21_54 Depth=2
	global_load_dword v7, v1, s[24:25] offset:-92
	s_add_u32 s36, s24, 0xffffffa4
	s_addc_u32 s37, s25, -1
	s_add_u32 s46, s30, 0xffffffe9
	s_addc_u32 s47, s31, -1
	global_store_dwordx2 v1, v[4:5], s[22:23] offset:184
	s_add_u32 s22, s22, 0xffffff48
	s_addc_u32 s23, s23, -1
	s_cmp_lt_i32 s30, 46
	s_mov_b64 s[40:41], 0
	s_mov_b64 s[30:31], s[46:47]
	s_cselect_b64 s[48:49], -1, 0
	s_waitcnt vmcnt(1)
	global_store_dword v1, v7, s[24:25]
	s_mov_b64 s[24:25], s[36:37]
                                        ; implicit-def: $sgpr36_sgpr37
	s_andn2_b64 vcc, exec, s[48:49]
	s_cbranch_vccz .LBB21_56
.LBB21_54:                              ;   Parent Loop BB21_52 Depth=1
                                        ; =>  This Inner Loop Header: Depth=2
	global_load_dwordx2 v[4:5], v1, s[22:23]
	s_mov_b64 s[40:41], -1
	s_waitcnt vmcnt(0)
	v_cmp_ngt_f64_e32 vcc, v[4:5], v[2:3]
	s_cbranch_vccz .LBB21_53
; %bb.55:                               ;   in Loop: Header=BB21_52 Depth=1
                                        ; implicit-def: $sgpr24_sgpr25
                                        ; implicit-def: $sgpr22_sgpr23
	s_mov_b64 s[36:37], s[30:31]
                                        ; implicit-def: $sgpr46_sgpr47
.LBB21_56:                              ;   in Loop: Header=BB21_52 Depth=1
	s_andn2_b64 vcc, exec, s[40:41]
	s_cbranch_vccz .LBB21_51
; %bb.57:                               ;   in Loop: Header=BB21_52 Depth=1
	s_bfe_i64 s[36:37], s[46:47], 0x200000
	s_branch .LBB21_51
.LBB21_58:
	s_cmp_lt_i32 s35, 11
	s_cbranch_scc1 .LBB21_67
; %bb.59:
	s_add_u32 s14, s8, s10
	s_addc_u32 s15, s9, s11
	s_add_u32 s14, s14, 40
	s_addc_u32 s15, s15, 0
	s_mov_b64 s[16:17], 10
	s_mov_b32 s19, 0
	v_mov_b32_e32 v1, 0
	s_mov_b64 s[20:21], s[6:7]
	s_branch .LBB21_61
.LBB21_60:                              ;   in Loop: Header=BB21_61 Depth=1
	s_lshl_b64 s[22:23], s[36:37], 3
	s_add_u32 s22, s6, s22
	s_addc_u32 s23, s7, s23
	s_waitcnt vmcnt(1)
	global_store_dwordx2 v1, v[2:3], s[22:23]
	s_lshl_b64 s[22:23], s[36:37], 2
	s_add_u32 s22, s50, s22
	s_addc_u32 s23, s54, s23
	s_add_u32 s16, s16, 1
	s_addc_u32 s17, s17, 0
	s_add_u32 s14, s14, 4
	s_addc_u32 s15, s15, 0
	s_add_u32 s20, s20, 8
	s_addc_u32 s21, s21, 0
	s_cmp_lt_i32 s16, s35
	s_waitcnt vmcnt(1)
	global_store_dword v1, v6, s[22:23]
	s_cbranch_scc0 .LBB21_67
.LBB21_61:                              ; =>This Loop Header: Depth=1
                                        ;     Child Loop BB21_63 Depth 2
	s_mov_b32 s18, s16
	s_lshl_b64 s[22:23], s[18:19], 3
	s_add_u32 s22, s6, s22
	s_addc_u32 s23, s7, s23
	s_lshl_b64 s[24:25], s[18:19], 2
	s_add_u32 s24, s50, s24
	s_addc_u32 s25, s54, s25
	global_load_dwordx2 v[2:3], v1, s[22:23]
	global_load_dword v6, v1, s[24:25]
	s_cmp_lt_u32 s16, 10
	s_mov_b64 s[36:37], s[18:19]
	s_mov_b64 s[22:23], s[20:21]
	;; [unrolled: 1-line block ×4, first 2 shown]
	s_cbranch_scc0 .LBB21_63
	s_branch .LBB21_60
.LBB21_62:                              ;   in Loop: Header=BB21_63 Depth=2
	global_load_dword v7, v1, s[24:25] offset:-40
	s_add_u32 s36, s24, 0xffffffd8
	s_addc_u32 s37, s25, -1
	s_add_u32 s46, s30, -10
	s_addc_u32 s47, s31, -1
	global_store_dwordx2 v1, v[4:5], s[22:23] offset:80
	s_add_u32 s22, s22, 0xffffffb0
	s_addc_u32 s23, s23, -1
	s_cmp_lt_i32 s30, 20
	s_mov_b64 s[40:41], 0
	s_mov_b64 s[30:31], s[46:47]
	s_cselect_b64 s[48:49], -1, 0
	s_waitcnt vmcnt(1)
	global_store_dword v1, v7, s[24:25]
	s_mov_b64 s[24:25], s[36:37]
                                        ; implicit-def: $sgpr36_sgpr37
	s_andn2_b64 vcc, exec, s[48:49]
	s_cbranch_vccz .LBB21_65
.LBB21_63:                              ;   Parent Loop BB21_61 Depth=1
                                        ; =>  This Inner Loop Header: Depth=2
	global_load_dwordx2 v[4:5], v1, s[22:23]
	s_mov_b64 s[40:41], -1
	s_waitcnt vmcnt(0)
	v_cmp_ngt_f64_e32 vcc, v[4:5], v[2:3]
	s_cbranch_vccz .LBB21_62
; %bb.64:                               ;   in Loop: Header=BB21_61 Depth=1
                                        ; implicit-def: $sgpr24_sgpr25
                                        ; implicit-def: $sgpr22_sgpr23
	s_mov_b64 s[36:37], s[30:31]
                                        ; implicit-def: $sgpr46_sgpr47
.LBB21_65:                              ;   in Loop: Header=BB21_61 Depth=1
	s_andn2_b64 vcc, exec, s[40:41]
	s_cbranch_vccz .LBB21_60
; %bb.66:                               ;   in Loop: Header=BB21_61 Depth=1
	s_bfe_i64 s[36:37], s[46:47], 0x200000
	s_branch .LBB21_60
.LBB21_67:
	s_cmp_lt_i32 s35, 5
	s_cbranch_scc1 .LBB21_76
; %bb.68:
	s_add_u32 s14, s8, s10
	s_addc_u32 s15, s9, s11
	s_add_u32 s14, s14, 16
	s_addc_u32 s15, s15, 0
	;; [unrolled: 2-line block ×4, first 2 shown]
	s_mov_b64 s[18:19], 4
	s_mov_b32 s21, 0
	v_mov_b32_e32 v1, 0
	s_branch .LBB21_70
.LBB21_69:                              ;   in Loop: Header=BB21_70 Depth=1
	s_lshl_b64 s[22:23], s[36:37], 3
	s_add_u32 s22, s6, s22
	s_addc_u32 s23, s7, s23
	s_waitcnt vmcnt(1)
	global_store_dwordx2 v1, v[2:3], s[22:23]
	s_lshl_b64 s[22:23], s[36:37], 2
	s_add_u32 s22, s50, s22
	s_addc_u32 s23, s54, s23
	s_add_u32 s18, s18, 1
	s_addc_u32 s19, s19, 0
	;; [unrolled: 2-line block ×4, first 2 shown]
	s_cmp_lt_i32 s18, s35
	s_waitcnt vmcnt(1)
	global_store_dword v1, v6, s[22:23]
	s_cbranch_scc0 .LBB21_76
.LBB21_70:                              ; =>This Loop Header: Depth=1
                                        ;     Child Loop BB21_72 Depth 2
	s_mov_b32 s20, s18
	s_lshl_b64 s[22:23], s[20:21], 3
	s_add_u32 s22, s6, s22
	s_addc_u32 s23, s7, s23
	s_lshl_b64 s[24:25], s[20:21], 2
	s_add_u32 s24, s50, s24
	s_addc_u32 s25, s54, s25
	global_load_dwordx2 v[2:3], v1, s[22:23]
	global_load_dword v6, v1, s[24:25]
	s_cmp_lt_u32 s18, 4
	s_mov_b64 s[36:37], s[20:21]
	s_mov_b64 s[30:31], s[16:17]
	;; [unrolled: 1-line block ×4, first 2 shown]
	s_cbranch_scc0 .LBB21_72
	s_branch .LBB21_69
.LBB21_71:                              ;   in Loop: Header=BB21_72 Depth=2
	global_load_dword v7, v1, s[22:23] offset:-16
	s_mov_b64 s[40:41], 0
	global_store_dwordx2 v1, v[4:5], s[30:31]
	s_add_u32 s30, s22, -16
	s_addc_u32 s31, s23, -1
	s_add_u32 s46, s24, -4
	s_addc_u32 s47, s25, -1
	s_cmp_lt_i32 s24, 8
	s_mov_b64 s[24:25], s[46:47]
	s_cselect_b64 s[48:49], -1, 0
	s_waitcnt vmcnt(1)
	global_store_dword v1, v7, s[22:23]
	s_mov_b64 s[22:23], s[30:31]
	s_mov_b64 s[30:31], s[36:37]
                                        ; implicit-def: $sgpr36_sgpr37
	s_andn2_b64 vcc, exec, s[48:49]
	s_cbranch_vccz .LBB21_74
.LBB21_72:                              ;   Parent Loop BB21_70 Depth=1
                                        ; =>  This Inner Loop Header: Depth=2
	global_load_dwordx2 v[4:5], v1, s[30:31] offset:-32
	s_add_u32 s36, s30, 0xffffffe0
	s_addc_u32 s37, s31, -1
	s_mov_b64 s[40:41], -1
	s_waitcnt vmcnt(0)
	v_cmp_ngt_f64_e32 vcc, v[4:5], v[2:3]
	s_cbranch_vccz .LBB21_71
; %bb.73:                               ;   in Loop: Header=BB21_70 Depth=1
                                        ; implicit-def: $sgpr22_sgpr23
                                        ; implicit-def: $sgpr30_sgpr31
	s_mov_b64 s[36:37], s[24:25]
                                        ; implicit-def: $sgpr46_sgpr47
.LBB21_74:                              ;   in Loop: Header=BB21_70 Depth=1
	s_andn2_b64 vcc, exec, s[40:41]
	s_cbranch_vccz .LBB21_69
; %bb.75:                               ;   in Loop: Header=BB21_70 Depth=1
	s_bfe_i64 s[36:37], s[46:47], 0x200000
	s_branch .LBB21_69
.LBB21_76:
	s_cmp_lt_i32 s35, 2
	s_cbranch_scc1 .LBB21_85
; %bb.77:
	s_add_u32 s8, s8, s10
	s_addc_u32 s9, s9, s11
	s_add_u32 s8, s8, 4
	s_addc_u32 s9, s9, 0
	s_add_u32 s10, s38, s12
	s_addc_u32 s11, s39, s13
	s_add_u32 s10, s10, 8
	s_addc_u32 s11, s11, 0
	s_mov_b64 s[12:13], 1
	s_mov_b32 s15, 0
	v_mov_b32_e32 v1, 0
	s_branch .LBB21_79
.LBB21_78:                              ;   in Loop: Header=BB21_79 Depth=1
	s_lshl_b64 s[18:19], s[16:17], 3
	s_add_u32 s18, s6, s18
	s_addc_u32 s19, s7, s19
	s_lshl_b64 s[16:17], s[16:17], 2
	s_add_u32 s16, s50, s16
	s_addc_u32 s17, s54, s17
	s_add_u32 s12, s12, 1
	s_addc_u32 s13, s13, 0
	;; [unrolled: 2-line block ×4, first 2 shown]
	s_cmp_ge_i32 s12, s35
	global_store_dwordx2 v1, v[2:3], s[18:19]
	global_store_dword v1, v6, s[16:17]
	s_cbranch_scc1 .LBB21_85
.LBB21_79:                              ; =>This Loop Header: Depth=1
                                        ;     Child Loop BB21_81 Depth 2
	s_mov_b32 s14, s12
	s_lshl_b64 s[16:17], s[14:15], 3
	s_add_u32 s16, s6, s16
	s_addc_u32 s17, s7, s17
	s_lshl_b64 s[18:19], s[14:15], 2
	s_add_u32 s18, s50, s18
	s_addc_u32 s19, s54, s19
	global_load_dwordx2 v[2:3], v1, s[16:17]
	global_load_dword v6, v1, s[18:19]
	s_mov_b64 s[20:21], s[10:11]
	s_mov_b64 s[18:19], s[8:9]
	s_mov_b64 s[16:17], s[12:13]
	s_branch .LBB21_81
.LBB21_80:                              ;   in Loop: Header=BB21_81 Depth=2
	global_load_dword v7, v1, s[18:19] offset:-4
	s_mov_b64 s[22:23], 0
	global_store_dwordx2 v1, v[4:5], s[20:21]
	s_add_u32 s20, s18, -4
	s_addc_u32 s21, s19, -1
	s_add_u32 s24, s16, -1
	s_addc_u32 s25, s17, -1
	s_cmp_lt_i32 s16, 2
	s_mov_b64 s[16:17], s[24:25]
	s_cselect_b64 s[36:37], -1, 0
	s_waitcnt vmcnt(1)
	global_store_dword v1, v7, s[18:19]
	s_mov_b64 s[18:19], s[20:21]
	s_mov_b64 s[20:21], s[30:31]
	s_andn2_b64 vcc, exec, s[36:37]
	s_cbranch_vccz .LBB21_83
.LBB21_81:                              ;   Parent Loop BB21_79 Depth=1
                                        ; =>  This Inner Loop Header: Depth=2
	global_load_dwordx2 v[4:5], v1, s[20:21] offset:-8
	s_add_u32 s30, s20, -8
	s_addc_u32 s31, s21, -1
	s_mov_b64 s[22:23], -1
	s_waitcnt vmcnt(0)
	v_cmp_ngt_f64_e32 vcc, v[4:5], v[2:3]
	s_cbranch_vccz .LBB21_80
; %bb.82:                               ;   in Loop: Header=BB21_79 Depth=1
                                        ; implicit-def: $sgpr18_sgpr19
                                        ; implicit-def: $sgpr20_sgpr21
                                        ; implicit-def: $sgpr24_sgpr25
.LBB21_83:                              ;   in Loop: Header=BB21_79 Depth=1
	s_andn2_b64 vcc, exec, s[22:23]
	s_cbranch_vccz .LBB21_78
; %bb.84:                               ;   in Loop: Header=BB21_79 Depth=1
	s_bfe_i64 s[16:17], s[24:25], 0x200000
	s_branch .LBB21_78
.LBB21_85:
	s_or_b64 exec, exec, s[4:5]
	s_cmp_lt_i32 s35, 2
	s_cselect_b64 s[10:11], -1, 0
	s_mov_b64 s[46:47], 0
	s_and_b64 vcc, exec, s[10:11]
	s_barrier
	s_cbranch_vccnz .LBB21_93
; %bb.86:
	s_add_i32 s20, s35, -1
	v_cmp_gt_u32_e32 vcc, s20, v0
	s_mov_b64 s[10:11], -1
	s_mov_b64 s[4:5], 0
	s_and_saveexec_b64 s[8:9], vcc
	s_cbranch_execz .LBB21_95
; %bb.87:
	s_add_u32 s21, s6, 8
	s_addc_u32 s22, s7, 0
	s_mov_b64 s[10:11], 0
	v_mov_b32_e32 v3, 0
	v_mov_b32_e32 v1, s7
	v_mov_b32_e32 v2, v0
                                        ; implicit-def: $sgpr12_sgpr13
	s_branch .LBB21_89
.LBB21_88:                              ;   in Loop: Header=BB21_89 Depth=1
	s_or_b64 exec, exec, s[18:19]
	s_xor_b64 s[14:15], s[14:15], -1
	s_and_b64 s[4:5], exec, s[4:5]
	s_or_b64 s[10:11], s[4:5], s[10:11]
	s_andn2_b64 s[4:5], s[12:13], exec
	s_and_b64 s[12:13], s[14:15], exec
	s_or_b64 s[12:13], s[4:5], s[12:13]
	s_andn2_b64 exec, exec, s[10:11]
	s_cbranch_execz .LBB21_94
.LBB21_89:                              ; =>This Inner Loop Header: Depth=1
	v_lshlrev_b64 v[4:5], 3, v[2:3]
	v_add_co_u32_e32 v4, vcc, s6, v4
	v_addc_co_u32_e32 v5, vcc, v1, v5, vcc
	global_load_dwordx2 v[4:5], v[4:5], off
                                        ; implicit-def: $sgpr14_sgpr15
	s_waitcnt vmcnt(0)
	v_cmp_u_f64_e64 s[16:17], v[4:5], v[4:5]
	v_cmp_o_f64_e32 vcc, v[4:5], v[4:5]
	s_and_saveexec_b64 s[18:19], vcc
	s_cbranch_execz .LBB21_91
; %bb.90:                               ;   in Loop: Header=BB21_89 Depth=1
	v_ashrrev_i32_e32 v7, 31, v2
	v_mov_b32_e32 v6, v2
	v_lshlrev_b64 v[6:7], 3, v[6:7]
	v_mov_b32_e32 v8, s22
	v_add_co_u32_e32 v6, vcc, s21, v6
	v_addc_co_u32_e32 v7, vcc, v8, v7, vcc
	global_load_dwordx2 v[6:7], v[6:7], off
	s_andn2_b64 s[16:17], s[16:17], exec
	s_mov_b64 s[14:15], -1
	s_waitcnt vmcnt(0)
	v_cmp_u_f64_e32 vcc, v[6:7], v[6:7]
	v_cmp_le_f64_e64 s[4:5], v[4:5], v[6:7]
	s_or_b64 s[4:5], vcc, s[4:5]
	s_and_b64 s[4:5], s[4:5], exec
	s_or_b64 s[16:17], s[16:17], s[4:5]
.LBB21_91:                              ;   in Loop: Header=BB21_89 Depth=1
	s_or_b64 exec, exec, s[18:19]
	s_mov_b64 s[4:5], -1
	s_and_saveexec_b64 s[18:19], s[16:17]
	s_cbranch_execz .LBB21_88
; %bb.92:                               ;   in Loop: Header=BB21_89 Depth=1
	v_add_u32_e32 v2, s55, v2
	v_cmp_le_u32_e32 vcc, s20, v2
	s_andn2_b64 s[14:15], s[14:15], exec
	s_orn2_b64 s[4:5], vcc, exec
	s_branch .LBB21_88
.LBB21_93:
	s_mov_b64 s[4:5], 0
	s_and_saveexec_b64 s[6:7], s[10:11]
	s_cbranch_execnz .LBB21_96
	s_branch .LBB21_97
.LBB21_94:
	s_or_b64 exec, exec, s[10:11]
	s_mov_b64 s[4:5], exec
	s_orn2_b64 s[10:11], s[12:13], exec
.LBB21_95:
	s_or_b64 exec, exec, s[8:9]
	s_and_saveexec_b64 s[6:7], s[10:11]
	s_cbranch_execz .LBB21_97
.LBB21_96:
	s_mov_b64 s[46:47], exec
	s_barrier
	s_andn2_b64 s[4:5], s[4:5], exec
.LBB21_97:
	s_or_b64 exec, exec, s[6:7]
	s_mov_b64 s[38:39], 0
	s_mov_b64 s[36:37], 0
	s_and_saveexec_b64 s[6:7], s[4:5]
	s_xor_b64 s[40:41], exec, s[6:7]
	s_cbranch_execz .LBB21_99
; %bb.98:
	s_add_u32 s8, s26, 0x58
	s_addc_u32 s9, s27, 0
	s_getpc_b64 s[4:5]
	s_add_u32 s4, s4, .str.5@rel32@lo+4
	s_addc_u32 s5, s5, .str.5@rel32@hi+12
	s_getpc_b64 s[6:7]
	s_add_u32 s6, s6, .str.6@rel32@lo+4
	s_addc_u32 s7, s7, .str.6@rel32@hi+12
	s_getpc_b64 s[10:11]
	s_add_u32 s10, s10, __PRETTY_FUNCTION__._ZN9rocsolver6v33100L20shell_sort_ascendingIdiEEvT0_PT_PS2_@rel32@lo+4
	s_addc_u32 s11, s11, __PRETTY_FUNCTION__._ZN9rocsolver6v33100L20shell_sort_ascendingIdiEEvT0_PT_PS2_@rel32@hi+12
	v_mov_b32_e32 v0, s4
	v_mov_b32_e32 v1, s5
	;; [unrolled: 1-line block ×7, first 2 shown]
	s_getpc_b64 s[12:13]
	s_add_u32 s12, s12, __assert_fail@rel32@lo+4
	s_addc_u32 s13, s13, __assert_fail@rel32@hi+12
	s_swappc_b64 s[30:31], s[12:13]
	s_mov_b64 s[36:37], exec
                                        ; implicit-def: $vgpr0
.LBB21_99:
	s_or_b64 exec, exec, s[40:41]
	s_and_b64 vcc, exec, s[38:39]
	s_cbranch_vccz .LBB21_21
.LBB21_100:
	v_add3_u32 v0, v42, v41, v43
	s_or_b64 s[46:47], s[46:47], exec
	s_and_saveexec_b64 s[38:39], s[46:47]
	s_cbranch_execz .LBB21_131
.LBB21_101:
	s_cmp_lt_i32 s35, 1
	s_barrier
	s_cbranch_scc1 .LBB21_120
; %bb.102:
	s_load_dwordx2 s[8:9], s[26:27], 0x28
	s_mul_i32 s10, s34, s45
	s_mul_i32 s12, s34, s44
	s_mov_b32 s11, 0
	v_cmp_eq_u32_e64 s[4:5], 0, v0
	s_waitcnt lgkmcnt(0)
	s_ashr_i32 s7, s8, 31
	s_mov_b32 s6, s8
	s_mul_hi_u32 s8, s34, s44
	s_add_i32 s13, s8, s10
	s_lshl_b64 s[12:13], s[12:13], 3
	s_add_u32 s8, s42, s12
	s_addc_u32 s10, s43, s13
	s_lshl_b64 s[6:7], s[6:7], 3
	s_add_u32 s24, s8, s6
	s_addc_u32 s25, s10, s7
	s_cmp_lg_u64 s[28:29], 0
	v_cmp_gt_i32_e64 s[6:7], s52, v0
	s_mov_b32 s30, s9
	s_cselect_b64 s[12:13], -1, 0
	v_cmp_gt_i32_e64 s[8:9], s53, v0
	v_mov_b32_e32 v1, 0
	s_mov_b32 s10, s11
	s_branch .LBB21_104
.LBB21_103:                             ;   in Loop: Header=BB21_104 Depth=1
	s_add_i32 s10, s10, 1
	s_cmp_eq_u32 s10, s35
	s_cbranch_scc1 .LBB21_120
.LBB21_104:                             ; =>This Loop Header: Depth=1
                                        ;     Child Loop BB21_107 Depth 2
                                        ;       Child Loop BB21_111 Depth 3
                                        ;       Child Loop BB21_116 Depth 3
	s_lshl_b64 s[14:15], s[10:11], 2
	s_add_u32 s14, s50, s14
	s_addc_u32 s15, s54, s15
	s_barrier
	global_load_dword v2, v1, s[14:15]
	s_waitcnt vmcnt(0)
	v_cmp_eq_u32_e32 vcc, s10, v2
	v_readfirstlane_b32 s16, v2
	s_cbranch_vccz .LBB21_107
	s_branch .LBB21_103
.LBB21_105:                             ;   in Loop: Header=BB21_107 Depth=2
	s_or_b64 exec, exec, s[18:19]
	s_waitcnt lgkmcnt(0)
	s_barrier
.LBB21_106:                             ;   in Loop: Header=BB21_107 Depth=2
	global_load_dword v2, v1, s[14:15]
	s_waitcnt vmcnt(0)
	v_cmp_ne_u32_e32 vcc, s10, v2
	v_readfirstlane_b32 s16, v2
	s_cbranch_vccz .LBB21_103
.LBB21_107:                             ;   Parent Loop BB21_104 Depth=1
                                        ; =>  This Loop Header: Depth=2
                                        ;       Child Loop BB21_111 Depth 3
                                        ;       Child Loop BB21_116 Depth 3
	s_ashr_i32 s17, s16, 31
	s_lshl_b64 s[18:19], s[16:17], 2
	s_add_u32 s18, s50, s18
	s_addc_u32 s19, s54, s19
	global_load_dword v2, v1, s[18:19]
	s_barrier
	s_waitcnt vmcnt(0)
	v_readfirstlane_b32 s17, v2
	s_and_saveexec_b64 s[20:21], s[4:5]
	s_cbranch_execz .LBB21_109
; %bb.108:                              ;   in Loop: Header=BB21_107 Depth=2
	v_mov_b32_e32 v2, s16
	global_store_dword v1, v2, s[18:19]
	v_mov_b32_e32 v2, s17
	global_store_dword v1, v2, s[14:15]
.LBB21_109:                             ;   in Loop: Header=BB21_107 Depth=2
	s_or_b64 exec, exec, s[20:21]
	s_barrier
	s_barrier
	s_and_saveexec_b64 s[18:19], s[6:7]
	s_cbranch_execz .LBB21_112
; %bb.110:                              ;   in Loop: Header=BB21_107 Depth=2
	s_mul_hi_i32 s21, s16, s30
	s_mul_i32 s20, s16, s30
	s_lshl_b64 s[20:21], s[20:21], 3
	s_mul_hi_i32 s41, s17, s30
	s_mul_i32 s40, s17, s30
	s_add_u32 s22, s24, s20
	s_addc_u32 s31, s25, s21
	s_lshl_b64 s[20:21], s[40:41], 3
	s_add_u32 s23, s24, s20
	s_addc_u32 s33, s25, s21
	s_mov_b64 s[20:21], 0
	v_mov_b32_e32 v4, s31
	v_mov_b32_e32 v5, s33
	;; [unrolled: 1-line block ×3, first 2 shown]
.LBB21_111:                             ;   Parent Loop BB21_104 Depth=1
                                        ;     Parent Loop BB21_107 Depth=2
                                        ; =>    This Inner Loop Header: Depth=3
	v_ashrrev_i32_e32 v3, 31, v2
	v_lshlrev_b64 v[6:7], 3, v[2:3]
	v_add_co_u32_e32 v8, vcc, s22, v6
	v_addc_co_u32_e32 v9, vcc, v4, v7, vcc
	v_add_co_u32_e32 v6, vcc, s23, v6
	v_addc_co_u32_e32 v7, vcc, v5, v7, vcc
	global_load_dwordx2 v[10:11], v[6:7], off
	global_load_dwordx2 v[12:13], v[8:9], off
	v_add_u32_e32 v2, s51, v2
	v_cmp_le_i32_e32 vcc, s52, v2
	s_or_b64 s[20:21], vcc, s[20:21]
	s_waitcnt vmcnt(1)
	global_store_dwordx2 v[8:9], v[10:11], off
	s_waitcnt vmcnt(1)
	global_store_dwordx2 v[6:7], v[12:13], off
	s_andn2_b64 exec, exec, s[20:21]
	s_cbranch_execnz .LBB21_111
.LBB21_112:                             ;   in Loop: Header=BB21_107 Depth=2
	s_or_b64 exec, exec, s[18:19]
	s_and_b64 vcc, exec, s[12:13]
	s_barrier
	s_cbranch_vccz .LBB21_106
; %bb.113:                              ;   in Loop: Header=BB21_107 Depth=2
	s_barrier
	s_and_saveexec_b64 s[18:19], s[8:9]
	s_cbranch_execz .LBB21_105
; %bb.114:                              ;   in Loop: Header=BB21_107 Depth=2
	s_add_i32 s31, s16, 1
	s_add_i32 s33, s17, 1
	s_mov_b64 s[16:17], 0
	v_mov_b32_e32 v2, v0
	s_branch .LBB21_116
.LBB21_115:                             ;   in Loop: Header=BB21_116 Depth=3
	s_or_b64 exec, exec, s[22:23]
	v_add_u32_e32 v2, s51, v2
	v_cmp_le_i32_e32 vcc, s53, v2
	s_or_b64 s[16:17], vcc, s[16:17]
	s_andn2_b64 exec, exec, s[16:17]
	s_cbranch_execz .LBB21_105
.LBB21_116:                             ;   Parent Loop BB21_104 Depth=1
                                        ;     Parent Loop BB21_107 Depth=2
                                        ; =>    This Inner Loop Header: Depth=3
	v_ashrrev_i32_e32 v3, 31, v2
	v_lshlrev_b64 v[4:5], 2, v[2:3]
	v_mov_b32_e32 v3, s29
	v_add_co_u32_e32 v4, vcc, s28, v4
	v_addc_co_u32_e32 v5, vcc, v3, v5, vcc
	flat_load_dword v6, v[4:5]
	v_mov_b32_e32 v3, s33
	s_waitcnt vmcnt(0) lgkmcnt(0)
	v_cmp_eq_u32_e64 s[20:21], s31, v6
	v_cmp_ne_u32_e32 vcc, s31, v6
	s_and_saveexec_b64 s[22:23], vcc
; %bb.117:                              ;   in Loop: Header=BB21_116 Depth=3
	v_cmp_eq_u32_e32 vcc, s33, v6
	s_andn2_b64 s[20:21], s[20:21], exec
	s_and_b64 s[40:41], vcc, exec
	v_mov_b32_e32 v3, s31
	s_or_b64 s[20:21], s[20:21], s[40:41]
; %bb.118:                              ;   in Loop: Header=BB21_116 Depth=3
	s_or_b64 exec, exec, s[22:23]
	s_and_saveexec_b64 s[22:23], s[20:21]
	s_cbranch_execz .LBB21_115
; %bb.119:                              ;   in Loop: Header=BB21_116 Depth=3
	flat_store_dword v[4:5], v3
	s_branch .LBB21_115
.LBB21_120:
	v_cmp_gt_u32_e32 vcc, s35, v0
	s_mov_b64 s[8:9], -1
	s_mov_b64 s[6:7], 0
	s_barrier
	s_and_saveexec_b64 s[4:5], vcc
	s_cbranch_execz .LBB21_126
; %bb.121:
	v_mov_b32_e32 v1, 0
	v_mov_b32_e32 v2, s54
                                        ; implicit-def: $sgpr8_sgpr9
                                        ; implicit-def: $sgpr12_sgpr13
                                        ; implicit-def: $sgpr10_sgpr11
	s_branch .LBB21_123
.LBB21_122:                             ;   in Loop: Header=BB21_123 Depth=1
	s_or_b64 exec, exec, s[14:15]
	s_xor_b64 s[14:15], s[10:11], -1
	s_and_b64 s[16:17], exec, s[12:13]
	s_or_b64 s[6:7], s[16:17], s[6:7]
	s_andn2_b64 s[8:9], s[8:9], exec
	s_and_b64 s[14:15], s[14:15], exec
	s_or_b64 s[8:9], s[8:9], s[14:15]
	s_andn2_b64 exec, exec, s[6:7]
	s_cbranch_execz .LBB21_125
.LBB21_123:                             ; =>This Inner Loop Header: Depth=1
	v_lshlrev_b64 v[4:5], 2, v[0:1]
	v_add_co_u32_e32 v4, vcc, s50, v4
	v_addc_co_u32_e32 v5, vcc, v2, v5, vcc
	global_load_dword v3, v[4:5], off
	s_or_b64 s[10:11], s[10:11], exec
	s_or_b64 s[12:13], s[12:13], exec
	s_waitcnt vmcnt(0)
	v_cmp_eq_u32_e32 vcc, v0, v3
	s_and_saveexec_b64 s[14:15], vcc
	s_cbranch_execz .LBB21_122
; %bb.124:                              ;   in Loop: Header=BB21_123 Depth=1
	v_add_u32_e32 v0, s51, v0
	v_cmp_le_u32_e32 vcc, s35, v0
	s_andn2_b64 s[12:13], s[12:13], exec
	s_and_b64 s[16:17], vcc, exec
	s_andn2_b64 s[10:11], s[10:11], exec
	s_or_b64 s[12:13], s[12:13], s[16:17]
	s_branch .LBB21_122
.LBB21_125:
	s_or_b64 exec, exec, s[6:7]
	s_mov_b64 s[6:7], exec
	s_orn2_b64 s[8:9], s[8:9], exec
.LBB21_126:
	s_or_b64 exec, exec, s[4:5]
	s_and_saveexec_b64 s[4:5], s[8:9]
	s_cbranch_execz .LBB21_128
; %bb.127:
	s_barrier
	s_barrier
	s_andn2_b64 s[6:7], s[6:7], exec
.LBB21_128:
	s_or_b64 exec, exec, s[4:5]
	s_mov_b64 s[4:5], s[36:37]
	s_and_saveexec_b64 s[8:9], s[6:7]
	s_xor_b64 s[28:29], exec, s[8:9]
	s_cbranch_execz .LBB21_130
; %bb.129:
	s_add_u32 s8, s26, 0x58
	s_addc_u32 s9, s27, 0
	s_getpc_b64 s[4:5]
	s_add_u32 s4, s4, .str.8@rel32@lo+4
	s_addc_u32 s5, s5, .str.8@rel32@hi+12
	s_getpc_b64 s[6:7]
	s_add_u32 s6, s6, .str.3@rel32@lo+4
	s_addc_u32 s7, s7, .str.3@rel32@hi+12
	s_getpc_b64 s[10:11]
	s_add_u32 s10, s10, __PRETTY_FUNCTION__._ZN9rocsolver6v33100L18syevx_permute_swapIdEEviiiPiPT_iS2_@rel32@lo+4
	s_addc_u32 s11, s11, __PRETTY_FUNCTION__._ZN9rocsolver6v33100L18syevx_permute_swapIdEEviiiPiPT_iS2_@rel32@hi+12
	v_mov_b32_e32 v0, s4
	v_mov_b32_e32 v1, s5
	;; [unrolled: 1-line block ×7, first 2 shown]
	s_getpc_b64 s[12:13]
	s_add_u32 s12, s12, __assert_fail@rel32@lo+4
	s_addc_u32 s13, s13, __assert_fail@rel32@hi+12
	s_swappc_b64 s[30:31], s[12:13]
	s_or_b64 s[4:5], s[36:37], exec
.LBB21_130:
	s_or_b64 exec, exec, s[28:29]
	s_andn2_b64 s[6:7], s[36:37], exec
	s_and_b64 s[4:5], s[4:5], exec
	s_or_b64 s[36:37], s[6:7], s[4:5]
.LBB21_131:
	s_or_b64 exec, exec, s[38:39]
	s_branch .LBB21_133
.LBB21_132:
	s_add_u32 s8, s26, 0x58
	s_addc_u32 s9, s27, 0
	s_getpc_b64 s[4:5]
	s_add_u32 s4, s4, .str.4@rel32@lo+4
	s_addc_u32 s5, s5, .str.4@rel32@hi+12
	s_getpc_b64 s[6:7]
	s_add_u32 s6, s6, .str.3@rel32@lo+4
	s_addc_u32 s7, s7, .str.3@rel32@hi+12
	s_getpc_b64 s[10:11]
	s_add_u32 s10, s10, __PRETTY_FUNCTION__._ZN9rocsolver6v33100L15syevx_sort_eigsIddPdEEviPiPT0_lT1_iilS3_lS3_S3_@rel32@lo+4
	s_addc_u32 s11, s11, __PRETTY_FUNCTION__._ZN9rocsolver6v33100L15syevx_sort_eigsIddPdEEviPiPT0_lT1_iilS3_lS3_S3_@rel32@hi+12
	v_mov_b32_e32 v0, s4
	v_mov_b32_e32 v1, s5
	;; [unrolled: 1-line block ×7, first 2 shown]
	s_getpc_b64 s[12:13]
	s_add_u32 s12, s12, __assert_fail@rel32@lo+4
	s_addc_u32 s13, s13, __assert_fail@rel32@hi+12
	s_swappc_b64 s[30:31], s[12:13]
	s_or_b64 s[36:37], s[36:37], exec
.LBB21_133:
	s_branch .LBB21_4
.LBB21_134:
	s_add_u32 s8, s26, 0x58
	s_addc_u32 s9, s27, 0
	s_getpc_b64 s[4:5]
	s_add_u32 s4, s4, .str.2@rel32@lo+4
	s_addc_u32 s5, s5, .str.2@rel32@hi+12
	s_getpc_b64 s[6:7]
	s_add_u32 s6, s6, .str.3@rel32@lo+4
	s_addc_u32 s7, s7, .str.3@rel32@hi+12
	s_getpc_b64 s[10:11]
	s_add_u32 s10, s10, __PRETTY_FUNCTION__._ZN9rocsolver6v33100L15syevx_sort_eigsIddPdEEviPiPT0_lT1_iilS3_lS3_S3_@rel32@lo+4
	s_addc_u32 s11, s11, __PRETTY_FUNCTION__._ZN9rocsolver6v33100L15syevx_sort_eigsIddPdEEviPiPT0_lT1_iilS3_lS3_S3_@rel32@hi+12
	v_mov_b32_e32 v0, s4
	v_mov_b32_e32 v1, s5
	;; [unrolled: 1-line block ×7, first 2 shown]
	s_getpc_b64 s[12:13]
	s_add_u32 s12, s12, __assert_fail@rel32@lo+4
	s_addc_u32 s13, s13, __assert_fail@rel32@hi+12
	s_swappc_b64 s[30:31], s[12:13]
	s_or_b64 s[36:37], s[36:37], exec
	s_and_saveexec_b64 s[4:5], s[36:37]
	s_cbranch_execz .LBB21_5
.LBB21_135:
	; divergent unreachable
	s_endpgm
	.section	.rodata,"a",@progbits
	.p2align	6, 0x0
	.amdhsa_kernel _ZN9rocsolver6v33100L15syevx_sort_eigsIddPdEEviPiPT0_lT1_iilS3_lS3_S3_
		.amdhsa_group_segment_fixed_size 0
		.amdhsa_private_segment_fixed_size 64
		.amdhsa_kernarg_size 344
		.amdhsa_user_sgpr_count 8
		.amdhsa_user_sgpr_private_segment_buffer 1
		.amdhsa_user_sgpr_dispatch_ptr 0
		.amdhsa_user_sgpr_queue_ptr 0
		.amdhsa_user_sgpr_kernarg_segment_ptr 1
		.amdhsa_user_sgpr_dispatch_id 0
		.amdhsa_user_sgpr_flat_scratch_init 1
		.amdhsa_user_sgpr_kernarg_preload_length 0
		.amdhsa_user_sgpr_kernarg_preload_offset 0
		.amdhsa_user_sgpr_private_segment_size 0
		.amdhsa_uses_dynamic_stack 0
		.amdhsa_system_sgpr_private_segment_wavefront_offset 1
		.amdhsa_system_sgpr_workgroup_id_x 1
		.amdhsa_system_sgpr_workgroup_id_y 1
		.amdhsa_system_sgpr_workgroup_id_z 0
		.amdhsa_system_sgpr_workgroup_info 0
		.amdhsa_system_vgpr_workitem_id 2
		.amdhsa_next_free_vgpr 54
		.amdhsa_next_free_sgpr 56
		.amdhsa_accum_offset 56
		.amdhsa_reserve_vcc 1
		.amdhsa_reserve_flat_scratch 1
		.amdhsa_float_round_mode_32 0
		.amdhsa_float_round_mode_16_64 0
		.amdhsa_float_denorm_mode_32 3
		.amdhsa_float_denorm_mode_16_64 3
		.amdhsa_dx10_clamp 1
		.amdhsa_ieee_mode 1
		.amdhsa_fp16_overflow 0
		.amdhsa_tg_split 0
		.amdhsa_exception_fp_ieee_invalid_op 0
		.amdhsa_exception_fp_denorm_src 0
		.amdhsa_exception_fp_ieee_div_zero 0
		.amdhsa_exception_fp_ieee_overflow 0
		.amdhsa_exception_fp_ieee_underflow 0
		.amdhsa_exception_fp_ieee_inexact 0
		.amdhsa_exception_int_div_zero 0
	.end_amdhsa_kernel
	.section	.text._ZN9rocsolver6v33100L15syevx_sort_eigsIddPdEEviPiPT0_lT1_iilS3_lS3_S3_,"axG",@progbits,_ZN9rocsolver6v33100L15syevx_sort_eigsIddPdEEviPiPT0_lT1_iilS3_lS3_S3_,comdat
.Lfunc_end21:
	.size	_ZN9rocsolver6v33100L15syevx_sort_eigsIddPdEEviPiPT0_lT1_iilS3_lS3_S3_, .Lfunc_end21-_ZN9rocsolver6v33100L15syevx_sort_eigsIddPdEEviPiPT0_lT1_iilS3_lS3_S3_
                                        ; -- End function
	.section	.AMDGPU.csdata,"",@progbits
; Kernel info:
; codeLenInByte = 4976
; NumSgprs: 62
; NumVgprs: 54
; NumAgprs: 0
; TotalNumVgprs: 54
; ScratchSize: 64
; MemoryBound: 0
; FloatMode: 240
; IeeeMode: 1
; LDSByteSize: 0 bytes/workgroup (compile time only)
; SGPRBlocks: 7
; VGPRBlocks: 6
; NumSGPRsForWavesPerEU: 62
; NumVGPRsForWavesPerEU: 54
; AccumOffset: 56
; Occupancy: 8
; WaveLimiterHint : 1
; COMPUTE_PGM_RSRC2:SCRATCH_EN: 1
; COMPUTE_PGM_RSRC2:USER_SGPR: 8
; COMPUTE_PGM_RSRC2:TRAP_HANDLER: 0
; COMPUTE_PGM_RSRC2:TGID_X_EN: 1
; COMPUTE_PGM_RSRC2:TGID_Y_EN: 1
; COMPUTE_PGM_RSRC2:TGID_Z_EN: 0
; COMPUTE_PGM_RSRC2:TIDIG_COMP_CNT: 2
; COMPUTE_PGM_RSRC3_GFX90A:ACCUM_OFFSET: 13
; COMPUTE_PGM_RSRC3_GFX90A:TG_SPLIT: 0
	.section	.text._ZN9rocsolver6v33100L19bdsvdx_reorder_vectIdPdEEv13rocblas_fill_iPiPT_lT0_iilS6_,"axG",@progbits,_ZN9rocsolver6v33100L19bdsvdx_reorder_vectIdPdEEv13rocblas_fill_iPiPT_lT0_iilS6_,comdat
	.globl	_ZN9rocsolver6v33100L19bdsvdx_reorder_vectIdPdEEv13rocblas_fill_iPiPT_lT0_iilS6_ ; -- Begin function _ZN9rocsolver6v33100L19bdsvdx_reorder_vectIdPdEEv13rocblas_fill_iPiPT_lT0_iilS6_
	.p2align	8
	.type	_ZN9rocsolver6v33100L19bdsvdx_reorder_vectIdPdEEv13rocblas_fill_iPiPT_lT0_iilS6_,@function
_ZN9rocsolver6v33100L19bdsvdx_reorder_vectIdPdEEv13rocblas_fill_iPiPT_lT0_iilS6_: ; @_ZN9rocsolver6v33100L19bdsvdx_reorder_vectIdPdEEv13rocblas_fill_iPiPT_lT0_iilS6_
; %bb.0:
	s_mov_b32 s16, s7
	s_load_dwordx8 s[8:15], s[4:5], 0x8
	s_load_dwordx2 s[6:7], s[4:5], 0x0
	s_ashr_i32 s17, s16, 31
	s_lshl_b64 s[0:1], s[16:17], 2
	s_waitcnt lgkmcnt(0)
	s_add_u32 s0, s8, s0
	s_addc_u32 s1, s9, s1
	s_load_dword s20, s[0:1], 0x0
	s_waitcnt lgkmcnt(0)
	s_cmp_le_i32 s20, s7
	s_cbranch_scc1 .LBB22_4
; %bb.1:
	v_cmp_eq_u32_e32 vcc, 0, v0
	s_and_saveexec_b64 s[2:3], vcc
	s_cbranch_execz .LBB22_3
; %bb.2:
	v_mov_b32_e32 v1, 0
	v_mov_b32_e32 v2, s7
	global_store_dword v1, v2, s[0:1]
.LBB22_3:
	s_or_b64 exec, exec, s[2:3]
	s_mov_b32 s20, s7
.LBB22_4:
	s_load_dwordx4 s[0:3], s[4:5], 0x30
	s_mul_i32 s8, s16, s7
	s_lshl_b32 s8, s8, 1
	s_ashr_i32 s9, s8, 31
	s_lshl_b64 s[8:9], s[8:9], 3
	s_waitcnt lgkmcnt(0)
	s_add_u32 s21, s2, s8
	s_addc_u32 s22, s3, s9
	v_cmp_gt_i32_e32 vcc, s20, v0
	s_and_saveexec_b64 s[2:3], vcc
	s_cbranch_execz .LBB22_7
; %bb.5:
	s_mul_i32 s8, s16, s13
	s_mul_hi_u32 s9, s16, s12
	s_add_i32 s8, s9, s8
	s_mul_i32 s9, s17, s12
	s_load_dword s13, s[4:5], 0x4c
	s_add_i32 s9, s8, s9
	s_mul_i32 s8, s16, s12
	s_lshl_b64 s[8:9], s[8:9], 3
	s_add_u32 s10, s10, s8
	s_addc_u32 s12, s11, s9
	s_waitcnt lgkmcnt(0)
	s_and_b32 s11, s13, 0xffff
	s_mov_b64 s[8:9], 0
	v_mov_b32_e32 v1, s22
	v_mov_b32_e32 v4, s12
	;; [unrolled: 1-line block ×3, first 2 shown]
.LBB22_6:                               ; =>This Inner Loop Header: Depth=1
	v_ashrrev_i32_e32 v3, 31, v2
	v_lshlrev_b64 v[6:7], 3, v[2:3]
	v_add_co_u32_e32 v8, vcc, s21, v6
	v_addc_co_u32_e32 v9, vcc, v1, v7, vcc
	global_load_dwordx2 v[8:9], v[8:9], off
	v_add_co_u32_e32 v6, vcc, s10, v6
	v_add_u32_e32 v2, s11, v2
	v_addc_co_u32_e32 v7, vcc, v4, v7, vcc
	v_cmp_le_i32_e32 vcc, s20, v2
	s_or_b64 s[8:9], vcc, s[8:9]
	s_waitcnt vmcnt(0)
	v_xor_b32_e32 v9, 0x80000000, v9
	global_store_dwordx2 v[6:7], v[8:9], off
	s_andn2_b64 exec, exec, s[8:9]
	s_cbranch_execnz .LBB22_6
.LBB22_7:
	s_or_b64 exec, exec, s[2:3]
	s_cmp_lt_i32 s20, 1
	s_barrier
	s_cbranch_scc1 .LBB22_23
; %bb.8:
	s_load_dwordx2 s[8:9], s[4:5], 0x28
	s_mul_i32 s1, s16, s1
	s_mul_hi_u32 s2, s16, s0
	s_add_i32 s1, s2, s1
	s_mov_b32 s12, 0x667f3bcd
	s_waitcnt lgkmcnt(0)
	s_ashr_i32 s3, s8, 31
	s_mov_b32 s2, s8
	s_mul_i32 s8, s17, s0
	s_add_i32 s1, s1, s8
	s_mul_i32 s0, s16, s0
	s_lshl_b64 s[0:1], s[0:1], 3
	s_add_u32 s8, s14, s0
	s_addc_u32 s10, s15, s1
	s_lshl_b64 s[0:1], s[2:3], 3
	s_add_u32 s8, s8, s0
	s_addc_u32 s23, s10, s1
	s_lshl_b32 s24, s7, 1
	s_add_u32 s10, s4, 64
	s_addc_u32 s11, s5, 0
	s_cmpk_lg_i32 s6, 0x79
	s_cselect_b64 s[4:5], -1, 0
	v_cndmask_b32_e64 v2, 0, 1, s[4:5]
	v_cmp_gt_i32_e64 s[0:1], s24, v0
	v_cmp_gt_i32_e64 s[2:3], s7, v0
	v_lshlrev_b32_e32 v1, 1, v0
	s_mov_b32 s6, 0
	v_cmp_ne_u32_e64 s[4:5], 1, v2
	s_mov_b32 s13, 0x3ff6a09e
	s_mov_b32 s15, 0xbff6a09e
	;; [unrolled: 1-line block ×4, first 2 shown]
	s_branch .LBB22_11
.LBB22_9:                               ;   in Loop: Header=BB22_11 Depth=1
	s_or_b64 exec, exec, s[16:17]
.LBB22_10:                              ;   in Loop: Header=BB22_11 Depth=1
	s_add_i32 s26, s26, 1
	s_add_i32 s6, s6, s9
	;; [unrolled: 1-line block ×3, first 2 shown]
	s_cmp_lg_u32 s26, s20
	s_barrier
	s_cbranch_scc0 .LBB22_23
.LBB22_11:                              ; =>This Loop Header: Depth=1
                                        ;     Child Loop BB22_13 Depth 2
                                        ;     Child Loop BB22_17 Depth 2
	;; [unrolled: 1-line block ×3, first 2 shown]
	s_and_saveexec_b64 s[16:17], s[0:1]
	s_cbranch_execz .LBB22_14
; %bb.12:                               ;   in Loop: Header=BB22_11 Depth=1
	s_load_dword s14, s[10:11], 0xc
	s_mov_b64 s[18:19], 0
	v_mov_b32_e32 v2, v0
	s_waitcnt lgkmcnt(0)
	s_and_b32 s14, s14, 0xffff
.LBB22_13:                              ;   Parent Loop BB22_11 Depth=1
                                        ; =>  This Inner Loop Header: Depth=2
	v_add_u32_e32 v4, s6, v2
	v_ashrrev_i32_e32 v5, 31, v4
	v_lshlrev_b64 v[4:5], 3, v[4:5]
	v_mov_b32_e32 v3, s23
	v_add_co_u32_e32 v4, vcc, s8, v4
	v_addc_co_u32_e32 v5, vcc, v3, v5, vcc
	global_load_dwordx2 v[4:5], v[4:5], off
	v_ashrrev_i32_e32 v3, 31, v2
	v_lshlrev_b64 v[6:7], 3, v[2:3]
	v_mov_b32_e32 v8, s22
	v_add_co_u32_e32 v6, vcc, s21, v6
	v_add_u32_e32 v2, s14, v2
	v_addc_co_u32_e32 v7, vcc, v8, v7, vcc
	v_cmp_le_i32_e32 vcc, s24, v2
	s_or_b64 s[18:19], vcc, s[18:19]
	s_waitcnt vmcnt(0)
	global_store_dwordx2 v[6:7], v[4:5], off
	s_andn2_b64 exec, exec, s[18:19]
	s_cbranch_execnz .LBB22_13
.LBB22_14:                              ;   in Loop: Header=BB22_11 Depth=1
	s_or_b64 exec, exec, s[16:17]
	s_and_b64 vcc, exec, s[4:5]
	s_mov_b64 s[16:17], -1
	s_barrier
	s_cbranch_vccnz .LBB22_19
; %bb.15:                               ;   in Loop: Header=BB22_11 Depth=1
	s_and_saveexec_b64 s[16:17], s[2:3]
	s_cbranch_execz .LBB22_18
; %bb.16:                               ;   in Loop: Header=BB22_11 Depth=1
	s_load_dword s14, s[10:11], 0xc
	s_mov_b64 s[18:19], 0
	v_mov_b32_e32 v2, v1
	v_mov_b32_e32 v4, v0
	s_waitcnt lgkmcnt(0)
	s_and_b32 s27, s14, 0xffff
	s_lshl_b32 s28, s27, 1
.LBB22_17:                              ;   Parent Loop BB22_11 Depth=1
                                        ; =>  This Inner Loop Header: Depth=2
	v_ashrrev_i32_e32 v3, 31, v2
	v_lshlrev_b64 v[6:7], 3, v[2:3]
	v_mov_b32_e32 v5, s22
	v_add_co_u32_e32 v6, vcc, s21, v6
	v_addc_co_u32_e32 v7, vcc, v5, v7, vcc
	global_load_dwordx2 v[8:9], v[6:7], off
	v_add_u32_e32 v10, s6, v4
	v_ashrrev_i32_e32 v11, 31, v10
	v_lshlrev_b64 v[10:11], 3, v[10:11]
	v_mov_b32_e32 v3, s23
	v_add_co_u32_e32 v10, vcc, s8, v10
	v_addc_co_u32_e32 v11, vcc, v3, v11, vcc
	s_mov_b32 s14, s12
	v_add_u32_e32 v2, s28, v2
	s_waitcnt vmcnt(0)
	v_mul_f64 v[8:9], v[8:9], s[12:13]
	global_store_dwordx2 v[10:11], v[8:9], off
	global_load_dwordx2 v[6:7], v[6:7], off offset:8
	v_add_u32_e32 v8, s25, v4
	v_add_u32_e32 v4, s27, v4
	v_ashrrev_i32_e32 v9, 31, v8
	v_cmp_le_i32_e32 vcc, s7, v4
	v_lshlrev_b64 v[8:9], 3, v[8:9]
	s_or_b64 s[18:19], vcc, s[18:19]
	v_add_co_u32_e32 v8, vcc, s8, v8
	v_addc_co_u32_e32 v9, vcc, v3, v9, vcc
	s_waitcnt vmcnt(0)
	v_mul_f64 v[6:7], v[6:7], s[14:15]
	global_store_dwordx2 v[8:9], v[6:7], off
	s_andn2_b64 exec, exec, s[18:19]
	s_cbranch_execnz .LBB22_17
.LBB22_18:                              ;   in Loop: Header=BB22_11 Depth=1
	s_or_b64 exec, exec, s[16:17]
	s_mov_b64 s[16:17], 0
.LBB22_19:                              ;   in Loop: Header=BB22_11 Depth=1
	s_andn2_b64 vcc, exec, s[16:17]
	s_cbranch_vccnz .LBB22_10
; %bb.20:                               ;   in Loop: Header=BB22_11 Depth=1
	s_and_saveexec_b64 s[16:17], s[2:3]
	s_cbranch_execz .LBB22_9
; %bb.21:                               ;   in Loop: Header=BB22_11 Depth=1
	s_load_dword s14, s[10:11], 0xc
	s_mov_b64 s[18:19], 0
	v_mov_b32_e32 v2, v1
	v_mov_b32_e32 v4, v0
	s_waitcnt lgkmcnt(0)
	s_and_b32 s27, s14, 0xffff
	s_lshl_b32 s28, s27, 1
.LBB22_22:                              ;   Parent Loop BB22_11 Depth=1
                                        ; =>  This Inner Loop Header: Depth=2
	v_ashrrev_i32_e32 v3, 31, v2
	v_lshlrev_b64 v[6:7], 3, v[2:3]
	v_mov_b32_e32 v5, s22
	v_add_co_u32_e32 v6, vcc, s21, v6
	v_addc_co_u32_e32 v7, vcc, v5, v7, vcc
	global_load_dwordx2 v[8:9], v[6:7], off offset:8
	v_add_u32_e32 v10, s6, v4
	v_ashrrev_i32_e32 v11, 31, v10
	v_lshlrev_b64 v[10:11], 3, v[10:11]
	v_mov_b32_e32 v3, s23
	v_add_co_u32_e32 v10, vcc, s8, v10
	v_addc_co_u32_e32 v11, vcc, v3, v11, vcc
	s_mov_b32 s14, s12
	v_add_u32_e32 v2, s28, v2
	s_waitcnt vmcnt(0)
	v_mul_f64 v[8:9], v[8:9], s[12:13]
	global_store_dwordx2 v[10:11], v[8:9], off
	global_load_dwordx2 v[6:7], v[6:7], off
	v_add_u32_e32 v8, s25, v4
	v_add_u32_e32 v4, s27, v4
	v_ashrrev_i32_e32 v9, 31, v8
	v_cmp_le_i32_e32 vcc, s7, v4
	v_lshlrev_b64 v[8:9], 3, v[8:9]
	s_or_b64 s[18:19], vcc, s[18:19]
	v_add_co_u32_e32 v8, vcc, s8, v8
	v_addc_co_u32_e32 v9, vcc, v3, v9, vcc
	s_waitcnt vmcnt(0)
	v_mul_f64 v[6:7], v[6:7], s[14:15]
	global_store_dwordx2 v[8:9], v[6:7], off
	s_andn2_b64 exec, exec, s[18:19]
	s_cbranch_execnz .LBB22_22
	s_branch .LBB22_9
.LBB22_23:
	s_endpgm
	.section	.rodata,"a",@progbits
	.p2align	6, 0x0
	.amdhsa_kernel _ZN9rocsolver6v33100L19bdsvdx_reorder_vectIdPdEEv13rocblas_fill_iPiPT_lT0_iilS6_
		.amdhsa_group_segment_fixed_size 0
		.amdhsa_private_segment_fixed_size 0
		.amdhsa_kernarg_size 320
		.amdhsa_user_sgpr_count 6
		.amdhsa_user_sgpr_private_segment_buffer 1
		.amdhsa_user_sgpr_dispatch_ptr 0
		.amdhsa_user_sgpr_queue_ptr 0
		.amdhsa_user_sgpr_kernarg_segment_ptr 1
		.amdhsa_user_sgpr_dispatch_id 0
		.amdhsa_user_sgpr_flat_scratch_init 0
		.amdhsa_user_sgpr_kernarg_preload_length 0
		.amdhsa_user_sgpr_kernarg_preload_offset 0
		.amdhsa_user_sgpr_private_segment_size 0
		.amdhsa_uses_dynamic_stack 0
		.amdhsa_system_sgpr_private_segment_wavefront_offset 0
		.amdhsa_system_sgpr_workgroup_id_x 1
		.amdhsa_system_sgpr_workgroup_id_y 1
		.amdhsa_system_sgpr_workgroup_id_z 0
		.amdhsa_system_sgpr_workgroup_info 0
		.amdhsa_system_vgpr_workitem_id 0
		.amdhsa_next_free_vgpr 12
		.amdhsa_next_free_sgpr 29
		.amdhsa_accum_offset 12
		.amdhsa_reserve_vcc 1
		.amdhsa_reserve_flat_scratch 0
		.amdhsa_float_round_mode_32 0
		.amdhsa_float_round_mode_16_64 0
		.amdhsa_float_denorm_mode_32 3
		.amdhsa_float_denorm_mode_16_64 3
		.amdhsa_dx10_clamp 1
		.amdhsa_ieee_mode 1
		.amdhsa_fp16_overflow 0
		.amdhsa_tg_split 0
		.amdhsa_exception_fp_ieee_invalid_op 0
		.amdhsa_exception_fp_denorm_src 0
		.amdhsa_exception_fp_ieee_div_zero 0
		.amdhsa_exception_fp_ieee_overflow 0
		.amdhsa_exception_fp_ieee_underflow 0
		.amdhsa_exception_fp_ieee_inexact 0
		.amdhsa_exception_int_div_zero 0
	.end_amdhsa_kernel
	.section	.text._ZN9rocsolver6v33100L19bdsvdx_reorder_vectIdPdEEv13rocblas_fill_iPiPT_lT0_iilS6_,"axG",@progbits,_ZN9rocsolver6v33100L19bdsvdx_reorder_vectIdPdEEv13rocblas_fill_iPiPT_lT0_iilS6_,comdat
.Lfunc_end22:
	.size	_ZN9rocsolver6v33100L19bdsvdx_reorder_vectIdPdEEv13rocblas_fill_iPiPT_lT0_iilS6_, .Lfunc_end22-_ZN9rocsolver6v33100L19bdsvdx_reorder_vectIdPdEEv13rocblas_fill_iPiPT_lT0_iilS6_
                                        ; -- End function
	.section	.AMDGPU.csdata,"",@progbits
; Kernel info:
; codeLenInByte = 1080
; NumSgprs: 33
; NumVgprs: 12
; NumAgprs: 0
; TotalNumVgprs: 12
; ScratchSize: 0
; MemoryBound: 0
; FloatMode: 240
; IeeeMode: 1
; LDSByteSize: 0 bytes/workgroup (compile time only)
; SGPRBlocks: 4
; VGPRBlocks: 1
; NumSGPRsForWavesPerEU: 33
; NumVGPRsForWavesPerEU: 12
; AccumOffset: 12
; Occupancy: 8
; WaveLimiterHint : 0
; COMPUTE_PGM_RSRC2:SCRATCH_EN: 0
; COMPUTE_PGM_RSRC2:USER_SGPR: 6
; COMPUTE_PGM_RSRC2:TRAP_HANDLER: 0
; COMPUTE_PGM_RSRC2:TGID_X_EN: 1
; COMPUTE_PGM_RSRC2:TGID_Y_EN: 1
; COMPUTE_PGM_RSRC2:TGID_Z_EN: 0
; COMPUTE_PGM_RSRC2:TIDIG_COMP_CNT: 0
; COMPUTE_PGM_RSRC3_GFX90A:ACCUM_OFFSET: 2
; COMPUTE_PGM_RSRC3_GFX90A:TG_SPLIT: 0
	.text
	.p2alignl 6, 3212836864
	.fill 256, 4, 3212836864
	.type	__const.__assert_fail.fmt,@object ; @__const.__assert_fail.fmt
	.section	.rodata.str1.16,"aMS",@progbits,1
	.p2align	4, 0x0
__const.__assert_fail.fmt:
	.asciz	"%s:%u: %s: Device-side assertion `%s' failed.\n"
	.size	__const.__assert_fail.fmt, 47

	.type	.str.2,@object                  ; @.str.2
	.section	.rodata.str1.1,"aMS",@progbits,1
.str.2:
	.asciz	"nev <= n"
	.size	.str.2, 9

	.type	.str.3,@object                  ; @.str.3
.str.3:
	.asciz	"/root/src/amdgpu-assembly/repos/ROCm__rocSOLVER/library/src/lapack/roclapack_syevx_heevx.hpp"
	.size	.str.3, 93

	.type	__PRETTY_FUNCTION__._ZN9rocsolver6v33100L15syevx_sort_eigsIffPfEEviPiPT0_lT1_iilS3_lS3_S3_,@object ; @__PRETTY_FUNCTION__._ZN9rocsolver6v33100L15syevx_sort_eigsIffPfEEviPiPT0_lT1_iilS3_lS3_S3_
__PRETTY_FUNCTION__._ZN9rocsolver6v33100L15syevx_sort_eigsIffPfEEviPiPT0_lT1_iilS3_lS3_S3_:
	.asciz	"void rocsolver::syevx_sort_eigs(const rocblas_int, rocblas_int *, S *, const rocblas_stride, U, const rocblas_int, const rocblas_int, const rocblas_stride, rocblas_int *, const rocblas_stride, rocblas_int *, rocblas_int *) [T = float, S = float, U = float *]"
	.size	__PRETTY_FUNCTION__._ZN9rocsolver6v33100L15syevx_sort_eigsIffPfEEviPiPT0_lT1_iilS3_lS3_S3_, 259

	.type	.str.4,@object                  ; @.str.4
.str.4:
	.asciz	"isplit_map != nullptr"
	.size	.str.4, 22

	.type	.str.5,@object                  ; @.str.5
.str.5:
	.asciz	"std::isnan(a[k]) || std::isnan(a[k + 1]) || a[k] <= a[k + 1]"
	.size	.str.5, 61

	.type	.str.6,@object                  ; @.str.6
.str.6:
	.asciz	"/root/src/amdgpu-assembly/repos/ROCm__rocSOLVER/library/src/include/lib_device_helpers.hpp"
	.size	.str.6, 91

	.type	__PRETTY_FUNCTION__._ZN9rocsolver6v33100L20shell_sort_ascendingIfiEEvT0_PT_PS2_,@object ; @__PRETTY_FUNCTION__._ZN9rocsolver6v33100L20shell_sort_ascendingIfiEEvT0_PT_PS2_
__PRETTY_FUNCTION__._ZN9rocsolver6v33100L20shell_sort_ascendingIfiEEvT0_PT_PS2_:
	.asciz	"void rocsolver::shell_sort_ascending(const I, S *, I *) [S = float, I = int]"
	.size	__PRETTY_FUNCTION__._ZN9rocsolver6v33100L20shell_sort_ascendingIfiEEvT0_PT_PS2_, 77

	.type	.str.8,@object                  ; @.str.8
.str.8:
	.asciz	"map[k] == k"
	.size	.str.8, 12

	.type	__PRETTY_FUNCTION__._ZN9rocsolver6v33100L18syevx_permute_swapIfEEviiiPiPT_iS2_,@object ; @__PRETTY_FUNCTION__._ZN9rocsolver6v33100L18syevx_permute_swapIfEEviiiPiPT_iS2_
__PRETTY_FUNCTION__._ZN9rocsolver6v33100L18syevx_permute_swapIfEEviiiPiPT_iS2_:
	.asciz	"void rocsolver::syevx_permute_swap(rocblas_int, rocblas_int, rocblas_int, rocblas_int *, T *, rocblas_int, rocblas_int *) [T = float]"
	.size	__PRETTY_FUNCTION__._ZN9rocsolver6v33100L18syevx_permute_swapIfEEviiiPiPT_iS2_, 134

	.type	__PRETTY_FUNCTION__._ZN9rocsolver6v33100L15syevx_sort_eigsIddPdEEviPiPT0_lT1_iilS3_lS3_S3_,@object ; @__PRETTY_FUNCTION__._ZN9rocsolver6v33100L15syevx_sort_eigsIddPdEEviPiPT0_lT1_iilS3_lS3_S3_
__PRETTY_FUNCTION__._ZN9rocsolver6v33100L15syevx_sort_eigsIddPdEEviPiPT0_lT1_iilS3_lS3_S3_:
	.asciz	"void rocsolver::syevx_sort_eigs(const rocblas_int, rocblas_int *, S *, const rocblas_stride, U, const rocblas_int, const rocblas_int, const rocblas_stride, rocblas_int *, const rocblas_stride, rocblas_int *, rocblas_int *) [T = double, S = double, U = double *]"
	.size	__PRETTY_FUNCTION__._ZN9rocsolver6v33100L15syevx_sort_eigsIddPdEEviPiPT0_lT1_iilS3_lS3_S3_, 262

	.type	__PRETTY_FUNCTION__._ZN9rocsolver6v33100L20shell_sort_ascendingIdiEEvT0_PT_PS2_,@object ; @__PRETTY_FUNCTION__._ZN9rocsolver6v33100L20shell_sort_ascendingIdiEEvT0_PT_PS2_
__PRETTY_FUNCTION__._ZN9rocsolver6v33100L20shell_sort_ascendingIdiEEvT0_PT_PS2_:
	.asciz	"void rocsolver::shell_sort_ascending(const I, S *, I *) [S = double, I = int]"
	.size	__PRETTY_FUNCTION__._ZN9rocsolver6v33100L20shell_sort_ascendingIdiEEvT0_PT_PS2_, 78

	.type	__PRETTY_FUNCTION__._ZN9rocsolver6v33100L18syevx_permute_swapIdEEviiiPiPT_iS2_,@object ; @__PRETTY_FUNCTION__._ZN9rocsolver6v33100L18syevx_permute_swapIdEEviiiPiPT_iS2_
__PRETTY_FUNCTION__._ZN9rocsolver6v33100L18syevx_permute_swapIdEEviiiPiPT_iS2_:
	.asciz	"void rocsolver::syevx_permute_swap(rocblas_int, rocblas_int, rocblas_int, rocblas_int *, T *, rocblas_int, rocblas_int *) [T = double]"
	.size	__PRETTY_FUNCTION__._ZN9rocsolver6v33100L18syevx_permute_swapIdEEviiiPiPT_iS2_, 135

	.type	__hip_cuid_2193ffb1f39cddca,@object ; @__hip_cuid_2193ffb1f39cddca
	.section	.bss,"aw",@nobits
	.globl	__hip_cuid_2193ffb1f39cddca
__hip_cuid_2193ffb1f39cddca:
	.byte	0                               ; 0x0
	.size	__hip_cuid_2193ffb1f39cddca, 1

	.ident	"AMD clang version 19.0.0git (https://github.com/RadeonOpenCompute/llvm-project roc-6.4.0 25133 c7fe45cf4b819c5991fe208aaa96edf142730f1d)"
	.section	".note.GNU-stack","",@progbits
	.addrsig
	.addrsig_sym __hip_cuid_2193ffb1f39cddca
	.amdgpu_metadata
---
amdhsa.kernels:
  - .agpr_count:     0
    .args:
      - .address_space:  global
        .offset:         0
        .size:           8
        .value_kind:     global_buffer
      - .offset:         8
        .size:           4
        .value_kind:     by_value
      - .offset:         12
        .size:           4
        .value_kind:     by_value
      - .offset:         16
        .size:           4
        .value_kind:     by_value
      - .offset:         24
        .size:           4
        .value_kind:     hidden_block_count_x
      - .offset:         28
        .size:           4
        .value_kind:     hidden_block_count_y
      - .offset:         32
        .size:           4
        .value_kind:     hidden_block_count_z
      - .offset:         36
        .size:           2
        .value_kind:     hidden_group_size_x
      - .offset:         38
        .size:           2
        .value_kind:     hidden_group_size_y
      - .offset:         40
        .size:           2
        .value_kind:     hidden_group_size_z
      - .offset:         42
        .size:           2
        .value_kind:     hidden_remainder_x
      - .offset:         44
        .size:           2
        .value_kind:     hidden_remainder_y
      - .offset:         46
        .size:           2
        .value_kind:     hidden_remainder_z
      - .offset:         64
        .size:           8
        .value_kind:     hidden_global_offset_x
      - .offset:         72
        .size:           8
        .value_kind:     hidden_global_offset_y
      - .offset:         80
        .size:           8
        .value_kind:     hidden_global_offset_z
      - .offset:         88
        .size:           2
        .value_kind:     hidden_grid_dims
    .group_segment_fixed_size: 0
    .kernarg_segment_align: 8
    .kernarg_segment_size: 280
    .language:       OpenCL C
    .language_version:
      - 2
      - 0
    .max_flat_workgroup_size: 1024
    .name:           _ZN9rocsolver6v33100L10reset_infoIiiiEEvPT_T0_T1_S4_
    .private_segment_fixed_size: 0
    .sgpr_count:     12
    .sgpr_spill_count: 0
    .symbol:         _ZN9rocsolver6v33100L10reset_infoIiiiEEvPT_T0_T1_S4_.kd
    .uniform_work_group_size: 1
    .uses_dynamic_stack: false
    .vgpr_count:     4
    .vgpr_spill_count: 0
    .wavefront_size: 64
  - .agpr_count:     0
    .args:
      - .address_space:  global
        .offset:         0
        .size:           8
        .value_kind:     global_buffer
      - .offset:         8
        .size:           4
        .value_kind:     by_value
      - .offset:         12
        .size:           4
        .value_kind:     by_value
      - .offset:         16
        .size:           4
        .value_kind:     by_value
      - .offset:         24
        .size:           4
        .value_kind:     hidden_block_count_x
      - .offset:         28
        .size:           4
        .value_kind:     hidden_block_count_y
      - .offset:         32
        .size:           4
        .value_kind:     hidden_block_count_z
      - .offset:         36
        .size:           2
        .value_kind:     hidden_group_size_x
      - .offset:         38
        .size:           2
        .value_kind:     hidden_group_size_y
      - .offset:         40
        .size:           2
        .value_kind:     hidden_group_size_z
      - .offset:         42
        .size:           2
        .value_kind:     hidden_remainder_x
      - .offset:         44
        .size:           2
        .value_kind:     hidden_remainder_y
      - .offset:         46
        .size:           2
        .value_kind:     hidden_remainder_z
      - .offset:         64
        .size:           8
        .value_kind:     hidden_global_offset_x
      - .offset:         72
        .size:           8
        .value_kind:     hidden_global_offset_y
      - .offset:         80
        .size:           8
        .value_kind:     hidden_global_offset_z
      - .offset:         88
        .size:           2
        .value_kind:     hidden_grid_dims
    .group_segment_fixed_size: 0
    .kernarg_segment_align: 8
    .kernarg_segment_size: 280
    .language:       OpenCL C
    .language_version:
      - 2
      - 0
    .max_flat_workgroup_size: 1024
    .name:           _ZN9rocsolver6v33100L10reset_infoIfiiEEvPT_T0_T1_S4_
    .private_segment_fixed_size: 0
    .sgpr_count:     12
    .sgpr_spill_count: 0
    .symbol:         _ZN9rocsolver6v33100L10reset_infoIfiiEEvPT_T0_T1_S4_.kd
    .uniform_work_group_size: 1
    .uses_dynamic_stack: false
    .vgpr_count:     4
    .vgpr_spill_count: 0
    .wavefront_size: 64
  - .agpr_count:     0
    .args:
      - .offset:         0
        .size:           4
        .value_kind:     by_value
      - .offset:         4
        .size:           4
        .value_kind:     by_value
      - .address_space:  global
        .offset:         8
        .size:           8
        .value_kind:     global_buffer
      - .offset:         16
        .size:           4
        .value_kind:     by_value
      - .offset:         20
        .size:           4
        .value_kind:     by_value
      - .offset:         24
        .size:           8
        .value_kind:     by_value
      - .address_space:  global
        .offset:         32
        .size:           8
        .value_kind:     global_buffer
      - .offset:         40
        .size:           4
        .value_kind:     by_value
      - .offset:         44
        .size:           4
        .value_kind:     by_value
      - .offset:         48
        .size:           8
        .value_kind:     by_value
      - .offset:         56
        .size:           1
        .value_kind:     by_value
      - .offset:         60
        .size:           4
        .value_kind:     by_value
      - .offset:         64
        .size:           4
        .value_kind:     by_value
      - .offset:         72
        .size:           4
        .value_kind:     hidden_block_count_x
      - .offset:         76
        .size:           4
        .value_kind:     hidden_block_count_y
      - .offset:         80
        .size:           4
        .value_kind:     hidden_block_count_z
      - .offset:         84
        .size:           2
        .value_kind:     hidden_group_size_x
      - .offset:         86
        .size:           2
        .value_kind:     hidden_group_size_y
      - .offset:         88
        .size:           2
        .value_kind:     hidden_group_size_z
      - .offset:         90
        .size:           2
        .value_kind:     hidden_remainder_x
      - .offset:         92
        .size:           2
        .value_kind:     hidden_remainder_y
      - .offset:         94
        .size:           2
        .value_kind:     hidden_remainder_z
      - .offset:         112
        .size:           8
        .value_kind:     hidden_global_offset_x
      - .offset:         120
        .size:           8
        .value_kind:     hidden_global_offset_y
      - .offset:         128
        .size:           8
        .value_kind:     hidden_global_offset_z
      - .offset:         136
        .size:           2
        .value_kind:     hidden_grid_dims
    .group_segment_fixed_size: 0
    .kernarg_segment_align: 8
    .kernarg_segment_size: 328
    .language:       OpenCL C
    .language_version:
      - 2
      - 0
    .max_flat_workgroup_size: 1024
    .name:           _ZN9rocsolver6v33100L8copy_matIfPfS2_NS0_7no_maskEEEviiT0_iilT1_iilT2_13rocblas_fill_17rocblas_diagonal_
    .private_segment_fixed_size: 0
    .sgpr_count:     24
    .sgpr_spill_count: 0
    .symbol:         _ZN9rocsolver6v33100L8copy_matIfPfS2_NS0_7no_maskEEEviiT0_iilT1_iilT2_13rocblas_fill_17rocblas_diagonal_.kd
    .uniform_work_group_size: 1
    .uses_dynamic_stack: false
    .vgpr_count:     6
    .vgpr_spill_count: 0
    .wavefront_size: 64
  - .agpr_count:     0
    .args:
      - .offset:         0
        .size:           4
        .value_kind:     by_value
      - .offset:         4
        .size:           4
        .value_kind:     by_value
      - .offset:         8
        .size:           4
        .value_kind:     by_value
      - .address_space:  global
        .offset:         16
        .size:           8
        .value_kind:     global_buffer
      - .offset:         24
        .size:           4
        .value_kind:     by_value
      - .offset:         32
        .size:           8
        .value_kind:     by_value
      - .address_space:  global
        .offset:         40
        .size:           8
        .value_kind:     global_buffer
      - .address_space:  global
        .offset:         48
        .size:           8
        .value_kind:     global_buffer
      - .address_space:  global
        .offset:         56
        .size:           8
        .value_kind:     global_buffer
      - .offset:         64
        .size:           8
        .value_kind:     by_value
      - .address_space:  global
        .offset:         72
        .size:           8
        .value_kind:     global_buffer
      - .offset:         80
        .size:           8
        .value_kind:     by_value
      - .address_space:  global
        .offset:         88
        .size:           8
        .value_kind:     global_buffer
      - .offset:         96
        .size:           8
        .value_kind:     by_value
      - .offset:         104
        .size:           4
        .value_kind:     by_value
      - .offset:         112
        .size:           4
        .value_kind:     hidden_block_count_x
      - .offset:         116
        .size:           4
        .value_kind:     hidden_block_count_y
      - .offset:         120
        .size:           4
        .value_kind:     hidden_block_count_z
      - .offset:         124
        .size:           2
        .value_kind:     hidden_group_size_x
      - .offset:         126
        .size:           2
        .value_kind:     hidden_group_size_y
      - .offset:         128
        .size:           2
        .value_kind:     hidden_group_size_z
      - .offset:         130
        .size:           2
        .value_kind:     hidden_remainder_x
      - .offset:         132
        .size:           2
        .value_kind:     hidden_remainder_y
      - .offset:         134
        .size:           2
        .value_kind:     hidden_remainder_z
      - .offset:         152
        .size:           8
        .value_kind:     hidden_global_offset_x
      - .offset:         160
        .size:           8
        .value_kind:     hidden_global_offset_y
      - .offset:         168
        .size:           8
        .value_kind:     hidden_global_offset_z
      - .offset:         176
        .size:           2
        .value_kind:     hidden_grid_dims
    .group_segment_fixed_size: 0
    .kernarg_segment_align: 8
    .kernarg_segment_size: 368
    .language:       OpenCL C
    .language_version:
      - 2
      - 0
    .max_flat_workgroup_size: 1024
    .name:           _ZN9rocsolver6v33100L18stebz_case1_kernelIfPfEEv15rocblas_erange_T_S4_T0_ilPiS6_PS4_lS6_lS6_li
    .private_segment_fixed_size: 0
    .sgpr_count:     28
    .sgpr_spill_count: 0
    .symbol:         _ZN9rocsolver6v33100L18stebz_case1_kernelIfPfEEv15rocblas_erange_T_S4_T0_ilPiS6_PS4_lS6_lS6_li.kd
    .uniform_work_group_size: 1
    .uses_dynamic_stack: false
    .vgpr_count:     10
    .vgpr_spill_count: 0
    .wavefront_size: 64
  - .agpr_count:     0
    .args:
      - .offset:         0
        .size:           4
        .value_kind:     by_value
      - .offset:         4
        .size:           4
        .value_kind:     by_value
      - .offset:         8
        .size:           4
        .value_kind:     by_value
      - .offset:         12
        .size:           4
        .value_kind:     by_value
      - .offset:         16
        .size:           4
        .value_kind:     by_value
      - .offset:         20
        .size:           4
        .value_kind:     by_value
      - .address_space:  global
        .offset:         24
        .size:           8
        .value_kind:     global_buffer
      - .offset:         32
        .size:           4
        .value_kind:     by_value
      - .offset:         36
        .size:           4
        .value_kind:     by_value
      - .address_space:  global
        .offset:         40
        .size:           8
        .value_kind:     global_buffer
      - .offset:         48
        .size:           4
        .value_kind:     by_value
      - .offset:         52
        .size:           4
        .value_kind:     by_value
      - .address_space:  global
        .offset:         56
        .size:           8
        .value_kind:     global_buffer
      - .address_space:  global
        .offset:         64
        .size:           8
        .value_kind:     global_buffer
      - .offset:         72
        .size:           8
        .value_kind:     by_value
      - .address_space:  global
        .offset:         80
        .size:           8
        .value_kind:     global_buffer
      - .offset:         88
        .size:           8
        .value_kind:     by_value
      - .address_space:  global
        .offset:         96
        .size:           8
        .value_kind:     global_buffer
      - .address_space:  global
        .offset:         104
        .size:           8
        .value_kind:     global_buffer
      - .address_space:  global
        .offset:         112
        .size:           8
        .value_kind:     global_buffer
      - .address_space:  global
        .offset:         120
        .size:           8
        .value_kind:     global_buffer
      - .address_space:  global
        .offset:         128
        .size:           8
        .value_kind:     global_buffer
      - .address_space:  global
        .offset:         136
        .size:           8
        .value_kind:     global_buffer
      - .offset:         144
        .size:           4
        .value_kind:     by_value
      - .offset:         148
        .size:           4
        .value_kind:     by_value
    .group_segment_fixed_size: 2048
    .kernarg_segment_align: 8
    .kernarg_segment_size: 152
    .language:       OpenCL C
    .language_version:
      - 2
      - 0
    .max_flat_workgroup_size: 256
    .name:           _ZN9rocsolver6v33100L22stebz_splitting_kernelIfPfEEv15rocblas_erange_iT_S4_iiT0_iiS5_iiPiPS4_lS6_lS6_S7_S7_S7_S7_S6_S4_S4_
    .private_segment_fixed_size: 0
    .sgpr_count:     62
    .sgpr_spill_count: 0
    .symbol:         _ZN9rocsolver6v33100L22stebz_splitting_kernelIfPfEEv15rocblas_erange_iT_S4_iiT0_iiS5_iiPiPS4_lS6_lS6_S7_S7_S7_S7_S6_S4_S4_.kd
    .uniform_work_group_size: 1
    .uses_dynamic_stack: false
    .vgpr_count:     46
    .vgpr_spill_count: 0
    .wavefront_size: 64
  - .agpr_count:     0
    .args:
      - .offset:         0
        .size:           4
        .value_kind:     by_value
      - .offset:         4
        .size:           4
        .value_kind:     by_value
      - .offset:         8
        .size:           4
        .value_kind:     by_value
      - .address_space:  global
        .offset:         16
        .size:           8
        .value_kind:     global_buffer
      - .offset:         24
        .size:           4
        .value_kind:     by_value
      - .offset:         28
        .size:           4
        .value_kind:     by_value
      - .address_space:  global
        .offset:         32
        .size:           8
        .value_kind:     global_buffer
      - .offset:         40
        .size:           4
        .value_kind:     by_value
      - .offset:         44
        .size:           4
        .value_kind:     by_value
      - .address_space:  global
        .offset:         48
        .size:           8
        .value_kind:     global_buffer
      - .address_space:  global
        .offset:         56
        .size:           8
        .value_kind:     global_buffer
      - .offset:         64
        .size:           8
        .value_kind:     by_value
      - .address_space:  global
        .offset:         72
        .size:           8
        .value_kind:     global_buffer
      - .offset:         80
        .size:           8
        .value_kind:     by_value
      - .address_space:  global
        .offset:         88
        .size:           8
        .value_kind:     global_buffer
      - .offset:         96
        .size:           8
        .value_kind:     by_value
      - .address_space:  global
        .offset:         104
        .size:           8
        .value_kind:     global_buffer
      - .address_space:  global
        .offset:         112
        .size:           8
        .value_kind:     global_buffer
      - .address_space:  global
        .offset:         120
        .size:           8
        .value_kind:     global_buffer
      - .address_space:  global
        .offset:         128
        .size:           8
        .value_kind:     global_buffer
      - .address_space:  global
        .offset:         136
        .size:           8
        .value_kind:     global_buffer
      - .address_space:  global
        .offset:         144
        .size:           8
        .value_kind:     global_buffer
      - .address_space:  global
        .offset:         152
        .size:           8
        .value_kind:     global_buffer
      - .offset:         160
        .size:           4
        .value_kind:     by_value
      - .offset:         164
        .size:           4
        .value_kind:     by_value
    .group_segment_fixed_size: 4616
    .kernarg_segment_align: 8
    .kernarg_segment_size: 168
    .language:       OpenCL C
    .language_version:
      - 2
      - 0
    .max_flat_workgroup_size: 128
    .name:           _ZN9rocsolver6v33100L22stebz_bisection_kernelIfPfEEv15rocblas_erange_iT_T0_iiS5_iiPiPS4_lS6_lS6_lS6_S6_S7_S7_S7_S7_S6_S4_S4_
    .private_segment_fixed_size: 0
    .sgpr_count:     96
    .sgpr_spill_count: 0
    .symbol:         _ZN9rocsolver6v33100L22stebz_bisection_kernelIfPfEEv15rocblas_erange_iT_T0_iiS5_iiPiPS4_lS6_lS6_lS6_S6_S7_S7_S7_S7_S6_S4_S4_.kd
    .uniform_work_group_size: 1
    .uses_dynamic_stack: false
    .vgpr_count:     38
    .vgpr_spill_count: 0
    .wavefront_size: 64
  - .agpr_count:     0
    .args:
      - .offset:         0
        .size:           4
        .value_kind:     by_value
      - .offset:         4
        .size:           4
        .value_kind:     by_value
      - .offset:         8
        .size:           4
        .value_kind:     by_value
      - .offset:         12
        .size:           4
        .value_kind:     by_value
      - .offset:         16
        .size:           4
        .value_kind:     by_value
      - .address_space:  global
        .offset:         24
        .size:           8
        .value_kind:     global_buffer
      - .offset:         32
        .size:           4
        .value_kind:     by_value
      - .offset:         36
        .size:           4
        .value_kind:     by_value
      - .address_space:  global
        .offset:         40
        .size:           8
        .value_kind:     global_buffer
      - .address_space:  global
        .offset:         48
        .size:           8
        .value_kind:     global_buffer
      - .address_space:  global
        .offset:         56
        .size:           8
        .value_kind:     global_buffer
      - .offset:         64
        .size:           8
        .value_kind:     by_value
      - .address_space:  global
        .offset:         72
        .size:           8
        .value_kind:     global_buffer
      - .offset:         80
        .size:           8
        .value_kind:     by_value
      - .address_space:  global
        .offset:         88
        .size:           8
        .value_kind:     global_buffer
      - .offset:         96
        .size:           8
        .value_kind:     by_value
      - .offset:         104
        .size:           4
        .value_kind:     by_value
      - .address_space:  global
        .offset:         112
        .size:           8
        .value_kind:     global_buffer
      - .address_space:  global
        .offset:         120
        .size:           8
        .value_kind:     global_buffer
      - .address_space:  global
        .offset:         128
        .size:           8
        .value_kind:     global_buffer
      - .address_space:  global
        .offset:         136
        .size:           8
        .value_kind:     global_buffer
      - .address_space:  global
        .offset:         144
        .size:           8
        .value_kind:     global_buffer
      - .address_space:  global
        .offset:         152
        .size:           8
        .value_kind:     global_buffer
      - .offset:         160
        .size:           4
        .value_kind:     by_value
      - .offset:         168
        .size:           4
        .value_kind:     hidden_block_count_x
      - .offset:         172
        .size:           4
        .value_kind:     hidden_block_count_y
      - .offset:         176
        .size:           4
        .value_kind:     hidden_block_count_z
      - .offset:         180
        .size:           2
        .value_kind:     hidden_group_size_x
      - .offset:         182
        .size:           2
        .value_kind:     hidden_group_size_y
      - .offset:         184
        .size:           2
        .value_kind:     hidden_group_size_z
      - .offset:         186
        .size:           2
        .value_kind:     hidden_remainder_x
      - .offset:         188
        .size:           2
        .value_kind:     hidden_remainder_y
      - .offset:         190
        .size:           2
        .value_kind:     hidden_remainder_z
      - .offset:         208
        .size:           8
        .value_kind:     hidden_global_offset_x
      - .offset:         216
        .size:           8
        .value_kind:     hidden_global_offset_y
      - .offset:         224
        .size:           8
        .value_kind:     hidden_global_offset_z
      - .offset:         232
        .size:           2
        .value_kind:     hidden_grid_dims
    .group_segment_fixed_size: 0
    .kernarg_segment_align: 8
    .kernarg_segment_size: 424
    .language:       OpenCL C
    .language_version:
      - 2
      - 0
    .max_flat_workgroup_size: 1024
    .name:           _ZN9rocsolver6v33100L22stebz_synthesis_kernelIfPfEEv15rocblas_erange_15rocblas_eorder_iiiT0_iiPiS6_PT_lS6_lS6_liS6_S8_S8_S8_S8_S6_S7_
    .private_segment_fixed_size: 0
    .sgpr_count:     44
    .sgpr_spill_count: 0
    .symbol:         _ZN9rocsolver6v33100L22stebz_synthesis_kernelIfPfEEv15rocblas_erange_15rocblas_eorder_iiiT0_iiPiS6_PT_lS6_lS6_liS6_S8_S8_S8_S8_S6_S7_.kd
    .uniform_work_group_size: 1
    .uses_dynamic_stack: false
    .vgpr_count:     42
    .vgpr_spill_count: 0
    .wavefront_size: 64
  - .agpr_count:     0
    .args:
      - .offset:         0
        .size:           4
        .value_kind:     by_value
      - .address_space:  global
        .offset:         8
        .size:           8
        .value_kind:     global_buffer
      - .address_space:  global
        .offset:         16
        .size:           8
        .value_kind:     global_buffer
      - .offset:         24
        .size:           8
        .value_kind:     by_value
      - .address_space:  global
        .offset:         32
        .size:           8
        .value_kind:     global_buffer
      - .offset:         40
        .size:           4
        .value_kind:     hidden_block_count_x
      - .offset:         44
        .size:           4
        .value_kind:     hidden_block_count_y
      - .offset:         48
        .size:           4
        .value_kind:     hidden_block_count_z
      - .offset:         52
        .size:           2
        .value_kind:     hidden_group_size_x
      - .offset:         54
        .size:           2
        .value_kind:     hidden_group_size_y
      - .offset:         56
        .size:           2
        .value_kind:     hidden_group_size_z
      - .offset:         58
        .size:           2
        .value_kind:     hidden_remainder_x
      - .offset:         60
        .size:           2
        .value_kind:     hidden_remainder_y
      - .offset:         62
        .size:           2
        .value_kind:     hidden_remainder_z
      - .offset:         80
        .size:           8
        .value_kind:     hidden_global_offset_x
      - .offset:         88
        .size:           8
        .value_kind:     hidden_global_offset_y
      - .offset:         96
        .size:           8
        .value_kind:     hidden_global_offset_z
      - .offset:         104
        .size:           2
        .value_kind:     hidden_grid_dims
    .group_segment_fixed_size: 0
    .kernarg_segment_align: 8
    .kernarg_segment_size: 296
    .language:       OpenCL C
    .language_version:
      - 2
      - 0
    .max_flat_workgroup_size: 1024
    .name:           _ZN9rocsolver6v33100L15bdsvdx_abs_eigsIfEEviPiPT_lS4_
    .private_segment_fixed_size: 0
    .sgpr_count:     20
    .sgpr_spill_count: 0
    .symbol:         _ZN9rocsolver6v33100L15bdsvdx_abs_eigsIfEEviPiPT_lS4_.kd
    .uniform_work_group_size: 1
    .uses_dynamic_stack: false
    .vgpr_count:     4
    .vgpr_spill_count: 0
    .wavefront_size: 64
  - .agpr_count:     0
    .args:
      - .offset:         0
        .size:           4
        .value_kind:     by_value
      - .address_space:  global
        .offset:         8
        .size:           8
        .value_kind:     global_buffer
      - .offset:         16
        .size:           8
        .value_kind:     by_value
      - .address_space:  global
        .offset:         24
        .size:           8
        .value_kind:     global_buffer
      - .offset:         32
        .size:           8
        .value_kind:     by_value
      - .address_space:  global
        .offset:         40
        .size:           8
        .value_kind:     global_buffer
      - .address_space:  global
        .offset:         48
        .size:           8
        .value_kind:     global_buffer
      - .offset:         56
        .size:           8
        .value_kind:     by_value
      - .address_space:  global
        .offset:         64
        .size:           8
        .value_kind:     global_buffer
      - .offset:         72
        .size:           8
        .value_kind:     by_value
      - .address_space:  global
        .offset:         80
        .size:           8
        .value_kind:     global_buffer
      - .offset:         88
        .size:           8
        .value_kind:     by_value
      - .address_space:  global
        .offset:         96
        .size:           8
        .value_kind:     global_buffer
      - .offset:         104
        .size:           4
        .value_kind:     by_value
      - .offset:         108
        .size:           4
        .value_kind:     by_value
      - .offset:         112
        .size:           8
        .value_kind:     by_value
      - .address_space:  global
        .offset:         120
        .size:           8
        .value_kind:     global_buffer
      - .offset:         128
        .size:           8
        .value_kind:     by_value
      - .address_space:  global
        .offset:         136
        .size:           8
        .value_kind:     global_buffer
      - .address_space:  global
        .offset:         144
        .size:           8
        .value_kind:     global_buffer
      - .address_space:  global
        .offset:         152
        .size:           8
        .value_kind:     global_buffer
      - .offset:         160
        .size:           4
        .value_kind:     by_value
      - .offset:         164
        .size:           4
        .value_kind:     by_value
    .group_segment_fixed_size: 8
    .kernarg_segment_align: 8
    .kernarg_segment_size: 168
    .language:       OpenCL C
    .language_version:
      - 2
      - 0
    .max_flat_workgroup_size: 256
    .name:           _ZN9rocsolver6v33100L12stein_kernelIffPfEEviPT0_lS4_lPiS4_lS5_lS5_lT1_iilS5_lS5_S4_S5_S3_S3_
    .private_segment_fixed_size: 0
    .sgpr_count:     100
    .sgpr_spill_count: 40
    .symbol:         _ZN9rocsolver6v33100L12stein_kernelIffPfEEviPT0_lS4_lPiS4_lS5_lS5_lT1_iilS5_lS5_S4_S5_S3_S3_.kd
    .uniform_work_group_size: 1
    .uses_dynamic_stack: false
    .vgpr_count:     53
    .vgpr_spill_count: 0
    .wavefront_size: 64
  - .agpr_count:     0
    .args:
      - .offset:         0
        .size:           4
        .value_kind:     by_value
      - .address_space:  global
        .offset:         8
        .size:           8
        .value_kind:     global_buffer
      - .address_space:  global
        .offset:         16
        .size:           8
        .value_kind:     global_buffer
      - .offset:         24
        .size:           8
        .value_kind:     by_value
      - .address_space:  global
        .offset:         32
        .size:           8
        .value_kind:     global_buffer
      - .offset:         40
        .size:           4
        .value_kind:     by_value
      - .offset:         44
        .size:           4
        .value_kind:     by_value
      - .offset:         48
        .size:           8
        .value_kind:     by_value
      - .address_space:  global
        .offset:         56
        .size:           8
        .value_kind:     global_buffer
      - .offset:         64
        .size:           8
        .value_kind:     by_value
      - .address_space:  global
        .offset:         72
        .size:           8
        .value_kind:     global_buffer
      - .address_space:  global
        .offset:         80
        .size:           8
        .value_kind:     global_buffer
      - .offset:         88
        .size:           4
        .value_kind:     hidden_block_count_x
      - .offset:         92
        .size:           4
        .value_kind:     hidden_block_count_y
      - .offset:         96
        .size:           4
        .value_kind:     hidden_block_count_z
      - .offset:         100
        .size:           2
        .value_kind:     hidden_group_size_x
      - .offset:         102
        .size:           2
        .value_kind:     hidden_group_size_y
      - .offset:         104
        .size:           2
        .value_kind:     hidden_group_size_z
      - .offset:         106
        .size:           2
        .value_kind:     hidden_remainder_x
      - .offset:         108
        .size:           2
        .value_kind:     hidden_remainder_y
      - .offset:         110
        .size:           2
        .value_kind:     hidden_remainder_z
      - .offset:         128
        .size:           8
        .value_kind:     hidden_global_offset_x
      - .offset:         136
        .size:           8
        .value_kind:     hidden_global_offset_y
      - .offset:         144
        .size:           8
        .value_kind:     hidden_global_offset_z
      - .offset:         152
        .size:           2
        .value_kind:     hidden_grid_dims
      - .offset:         168
        .size:           8
        .value_kind:     hidden_hostcall_buffer
    .group_segment_fixed_size: 0
    .kernarg_segment_align: 8
    .kernarg_segment_size: 344
    .language:       OpenCL C
    .language_version:
      - 2
      - 0
    .max_flat_workgroup_size: 256
    .name:           _ZN9rocsolver6v33100L15syevx_sort_eigsIffPfEEviPiPT0_lT1_iilS3_lS3_S3_
    .private_segment_fixed_size: 64
    .sgpr_count:     62
    .sgpr_spill_count: 0
    .symbol:         _ZN9rocsolver6v33100L15syevx_sort_eigsIffPfEEviPiPT0_lT1_iilS3_lS3_S3_.kd
    .uniform_work_group_size: 1
    .uses_dynamic_stack: false
    .vgpr_count:     54
    .vgpr_spill_count: 0
    .wavefront_size: 64
  - .agpr_count:     0
    .args:
      - .offset:         0
        .size:           4
        .value_kind:     by_value
      - .offset:         4
        .size:           4
        .value_kind:     by_value
      - .address_space:  global
        .offset:         8
        .size:           8
        .value_kind:     global_buffer
      - .address_space:  global
        .offset:         16
        .size:           8
        .value_kind:     global_buffer
      - .offset:         24
        .size:           8
        .value_kind:     by_value
      - .address_space:  global
        .offset:         32
        .size:           8
        .value_kind:     global_buffer
      - .offset:         40
        .size:           4
        .value_kind:     by_value
      - .offset:         44
        .size:           4
        .value_kind:     by_value
      - .offset:         48
        .size:           8
        .value_kind:     by_value
      - .address_space:  global
        .offset:         56
        .size:           8
        .value_kind:     global_buffer
      - .offset:         64
        .size:           4
        .value_kind:     hidden_block_count_x
      - .offset:         68
        .size:           4
        .value_kind:     hidden_block_count_y
      - .offset:         72
        .size:           4
        .value_kind:     hidden_block_count_z
      - .offset:         76
        .size:           2
        .value_kind:     hidden_group_size_x
      - .offset:         78
        .size:           2
        .value_kind:     hidden_group_size_y
      - .offset:         80
        .size:           2
        .value_kind:     hidden_group_size_z
      - .offset:         82
        .size:           2
        .value_kind:     hidden_remainder_x
      - .offset:         84
        .size:           2
        .value_kind:     hidden_remainder_y
      - .offset:         86
        .size:           2
        .value_kind:     hidden_remainder_z
      - .offset:         104
        .size:           8
        .value_kind:     hidden_global_offset_x
      - .offset:         112
        .size:           8
        .value_kind:     hidden_global_offset_y
      - .offset:         120
        .size:           8
        .value_kind:     hidden_global_offset_z
      - .offset:         128
        .size:           2
        .value_kind:     hidden_grid_dims
    .group_segment_fixed_size: 0
    .kernarg_segment_align: 8
    .kernarg_segment_size: 320
    .language:       OpenCL C
    .language_version:
      - 2
      - 0
    .max_flat_workgroup_size: 1024
    .name:           _ZN9rocsolver6v33100L19bdsvdx_reorder_vectIfPfEEv13rocblas_fill_iPiPT_lT0_iilS6_
    .private_segment_fixed_size: 0
    .sgpr_count:     29
    .sgpr_spill_count: 0
    .symbol:         _ZN9rocsolver6v33100L19bdsvdx_reorder_vectIfPfEEv13rocblas_fill_iPiPT_lT0_iilS6_.kd
    .uniform_work_group_size: 1
    .uses_dynamic_stack: false
    .vgpr_count:     10
    .vgpr_spill_count: 0
    .wavefront_size: 64
  - .agpr_count:     0
    .args:
      - .address_space:  global
        .offset:         0
        .size:           8
        .value_kind:     global_buffer
      - .offset:         8
        .size:           4
        .value_kind:     by_value
      - .offset:         12
        .size:           4
        .value_kind:     by_value
      - .offset:         16
        .size:           4
        .value_kind:     by_value
      - .offset:         24
        .size:           4
        .value_kind:     hidden_block_count_x
      - .offset:         28
        .size:           4
        .value_kind:     hidden_block_count_y
      - .offset:         32
        .size:           4
        .value_kind:     hidden_block_count_z
      - .offset:         36
        .size:           2
        .value_kind:     hidden_group_size_x
      - .offset:         38
        .size:           2
        .value_kind:     hidden_group_size_y
      - .offset:         40
        .size:           2
        .value_kind:     hidden_group_size_z
      - .offset:         42
        .size:           2
        .value_kind:     hidden_remainder_x
      - .offset:         44
        .size:           2
        .value_kind:     hidden_remainder_y
      - .offset:         46
        .size:           2
        .value_kind:     hidden_remainder_z
      - .offset:         64
        .size:           8
        .value_kind:     hidden_global_offset_x
      - .offset:         72
        .size:           8
        .value_kind:     hidden_global_offset_y
      - .offset:         80
        .size:           8
        .value_kind:     hidden_global_offset_z
      - .offset:         88
        .size:           2
        .value_kind:     hidden_grid_dims
    .group_segment_fixed_size: 0
    .kernarg_segment_align: 8
    .kernarg_segment_size: 280
    .language:       OpenCL C
    .language_version:
      - 2
      - 0
    .max_flat_workgroup_size: 1024
    .name:           _ZN9rocsolver6v33100L10reset_infoIdiiEEvPT_T0_T1_S4_
    .private_segment_fixed_size: 0
    .sgpr_count:     12
    .sgpr_spill_count: 0
    .symbol:         _ZN9rocsolver6v33100L10reset_infoIdiiEEvPT_T0_T1_S4_.kd
    .uniform_work_group_size: 1
    .uses_dynamic_stack: false
    .vgpr_count:     6
    .vgpr_spill_count: 0
    .wavefront_size: 64
  - .agpr_count:     0
    .args:
      - .offset:         0
        .size:           4
        .value_kind:     by_value
      - .offset:         4
        .size:           4
        .value_kind:     by_value
      - .address_space:  global
        .offset:         8
        .size:           8
        .value_kind:     global_buffer
      - .offset:         16
        .size:           4
        .value_kind:     by_value
      - .offset:         20
        .size:           4
        .value_kind:     by_value
      - .offset:         24
        .size:           8
        .value_kind:     by_value
      - .address_space:  global
        .offset:         32
        .size:           8
        .value_kind:     global_buffer
      - .offset:         40
        .size:           4
        .value_kind:     by_value
      - .offset:         44
        .size:           4
        .value_kind:     by_value
      - .offset:         48
        .size:           8
        .value_kind:     by_value
      - .offset:         56
        .size:           1
        .value_kind:     by_value
      - .offset:         60
        .size:           4
        .value_kind:     by_value
      - .offset:         64
        .size:           4
        .value_kind:     by_value
      - .offset:         72
        .size:           4
        .value_kind:     hidden_block_count_x
      - .offset:         76
        .size:           4
        .value_kind:     hidden_block_count_y
      - .offset:         80
        .size:           4
        .value_kind:     hidden_block_count_z
      - .offset:         84
        .size:           2
        .value_kind:     hidden_group_size_x
      - .offset:         86
        .size:           2
        .value_kind:     hidden_group_size_y
      - .offset:         88
        .size:           2
        .value_kind:     hidden_group_size_z
      - .offset:         90
        .size:           2
        .value_kind:     hidden_remainder_x
      - .offset:         92
        .size:           2
        .value_kind:     hidden_remainder_y
      - .offset:         94
        .size:           2
        .value_kind:     hidden_remainder_z
      - .offset:         112
        .size:           8
        .value_kind:     hidden_global_offset_x
      - .offset:         120
        .size:           8
        .value_kind:     hidden_global_offset_y
      - .offset:         128
        .size:           8
        .value_kind:     hidden_global_offset_z
      - .offset:         136
        .size:           2
        .value_kind:     hidden_grid_dims
    .group_segment_fixed_size: 0
    .kernarg_segment_align: 8
    .kernarg_segment_size: 328
    .language:       OpenCL C
    .language_version:
      - 2
      - 0
    .max_flat_workgroup_size: 1024
    .name:           _ZN9rocsolver6v33100L8copy_matIdPdS2_NS0_7no_maskEEEviiT0_iilT1_iilT2_13rocblas_fill_17rocblas_diagonal_
    .private_segment_fixed_size: 0
    .sgpr_count:     24
    .sgpr_spill_count: 0
    .symbol:         _ZN9rocsolver6v33100L8copy_matIdPdS2_NS0_7no_maskEEEviiT0_iilT1_iilT2_13rocblas_fill_17rocblas_diagonal_.kd
    .uniform_work_group_size: 1
    .uses_dynamic_stack: false
    .vgpr_count:     6
    .vgpr_spill_count: 0
    .wavefront_size: 64
  - .agpr_count:     0
    .args:
      - .offset:         0
        .size:           4
        .value_kind:     by_value
      - .offset:         8
        .size:           8
        .value_kind:     by_value
      - .offset:         16
        .size:           8
        .value_kind:     by_value
      - .address_space:  global
        .offset:         24
        .size:           8
        .value_kind:     global_buffer
      - .offset:         32
        .size:           4
        .value_kind:     by_value
      - .offset:         40
        .size:           8
        .value_kind:     by_value
      - .address_space:  global
        .offset:         48
        .size:           8
        .value_kind:     global_buffer
      - .address_space:  global
        .offset:         56
        .size:           8
        .value_kind:     global_buffer
      - .address_space:  global
        .offset:         64
        .size:           8
        .value_kind:     global_buffer
      - .offset:         72
        .size:           8
        .value_kind:     by_value
      - .address_space:  global
        .offset:         80
        .size:           8
        .value_kind:     global_buffer
      - .offset:         88
        .size:           8
        .value_kind:     by_value
      - .address_space:  global
        .offset:         96
        .size:           8
        .value_kind:     global_buffer
      - .offset:         104
        .size:           8
        .value_kind:     by_value
      - .offset:         112
        .size:           4
        .value_kind:     by_value
      - .offset:         120
        .size:           4
        .value_kind:     hidden_block_count_x
      - .offset:         124
        .size:           4
        .value_kind:     hidden_block_count_y
      - .offset:         128
        .size:           4
        .value_kind:     hidden_block_count_z
      - .offset:         132
        .size:           2
        .value_kind:     hidden_group_size_x
      - .offset:         134
        .size:           2
        .value_kind:     hidden_group_size_y
      - .offset:         136
        .size:           2
        .value_kind:     hidden_group_size_z
      - .offset:         138
        .size:           2
        .value_kind:     hidden_remainder_x
      - .offset:         140
        .size:           2
        .value_kind:     hidden_remainder_y
      - .offset:         142
        .size:           2
        .value_kind:     hidden_remainder_z
      - .offset:         160
        .size:           8
        .value_kind:     hidden_global_offset_x
      - .offset:         168
        .size:           8
        .value_kind:     hidden_global_offset_y
      - .offset:         176
        .size:           8
        .value_kind:     hidden_global_offset_z
      - .offset:         184
        .size:           2
        .value_kind:     hidden_grid_dims
    .group_segment_fixed_size: 0
    .kernarg_segment_align: 8
    .kernarg_segment_size: 376
    .language:       OpenCL C
    .language_version:
      - 2
      - 0
    .max_flat_workgroup_size: 1024
    .name:           _ZN9rocsolver6v33100L18stebz_case1_kernelIdPdEEv15rocblas_erange_T_S4_T0_ilPiS6_PS4_lS6_lS6_li
    .private_segment_fixed_size: 0
    .sgpr_count:     32
    .sgpr_spill_count: 0
    .symbol:         _ZN9rocsolver6v33100L18stebz_case1_kernelIdPdEEv15rocblas_erange_T_S4_T0_ilPiS6_PS4_lS6_lS6_li.kd
    .uniform_work_group_size: 1
    .uses_dynamic_stack: false
    .vgpr_count:     11
    .vgpr_spill_count: 0
    .wavefront_size: 64
  - .agpr_count:     0
    .args:
      - .offset:         0
        .size:           4
        .value_kind:     by_value
      - .offset:         4
        .size:           4
        .value_kind:     by_value
      - .offset:         8
        .size:           8
        .value_kind:     by_value
      - .offset:         16
        .size:           8
        .value_kind:     by_value
      - .offset:         24
        .size:           4
        .value_kind:     by_value
      - .offset:         28
        .size:           4
        .value_kind:     by_value
      - .address_space:  global
        .offset:         32
        .size:           8
        .value_kind:     global_buffer
      - .offset:         40
        .size:           4
        .value_kind:     by_value
      - .offset:         44
        .size:           4
        .value_kind:     by_value
      - .address_space:  global
        .offset:         48
        .size:           8
        .value_kind:     global_buffer
      - .offset:         56
        .size:           4
        .value_kind:     by_value
      - .offset:         60
        .size:           4
        .value_kind:     by_value
      - .address_space:  global
        .offset:         64
        .size:           8
        .value_kind:     global_buffer
      - .address_space:  global
        .offset:         72
        .size:           8
        .value_kind:     global_buffer
      - .offset:         80
        .size:           8
        .value_kind:     by_value
      - .address_space:  global
        .offset:         88
        .size:           8
        .value_kind:     global_buffer
      - .offset:         96
        .size:           8
        .value_kind:     by_value
      - .address_space:  global
        .offset:         104
        .size:           8
        .value_kind:     global_buffer
      - .address_space:  global
        .offset:         112
        .size:           8
        .value_kind:     global_buffer
      - .address_space:  global
        .offset:         120
        .size:           8
        .value_kind:     global_buffer
      - .address_space:  global
        .offset:         128
        .size:           8
        .value_kind:     global_buffer
      - .address_space:  global
        .offset:         136
        .size:           8
        .value_kind:     global_buffer
      - .address_space:  global
        .offset:         144
        .size:           8
        .value_kind:     global_buffer
      - .offset:         152
        .size:           8
        .value_kind:     by_value
      - .offset:         160
        .size:           8
        .value_kind:     by_value
    .group_segment_fixed_size: 3072
    .kernarg_segment_align: 8
    .kernarg_segment_size: 168
    .language:       OpenCL C
    .language_version:
      - 2
      - 0
    .max_flat_workgroup_size: 256
    .name:           _ZN9rocsolver6v33100L22stebz_splitting_kernelIdPdEEv15rocblas_erange_iT_S4_iiT0_iiS5_iiPiPS4_lS6_lS6_S7_S7_S7_S7_S6_S4_S4_
    .private_segment_fixed_size: 0
    .sgpr_count:     64
    .sgpr_spill_count: 0
    .symbol:         _ZN9rocsolver6v33100L22stebz_splitting_kernelIdPdEEv15rocblas_erange_iT_S4_iiT0_iiS5_iiPiPS4_lS6_lS6_S7_S7_S7_S7_S6_S4_S4_.kd
    .uniform_work_group_size: 1
    .uses_dynamic_stack: false
    .vgpr_count:     44
    .vgpr_spill_count: 0
    .wavefront_size: 64
  - .agpr_count:     0
    .args:
      - .offset:         0
        .size:           4
        .value_kind:     by_value
      - .offset:         4
        .size:           4
        .value_kind:     by_value
      - .offset:         8
        .size:           8
        .value_kind:     by_value
      - .address_space:  global
        .offset:         16
        .size:           8
        .value_kind:     global_buffer
      - .offset:         24
        .size:           4
        .value_kind:     by_value
      - .offset:         28
        .size:           4
        .value_kind:     by_value
      - .address_space:  global
        .offset:         32
        .size:           8
        .value_kind:     global_buffer
      - .offset:         40
        .size:           4
        .value_kind:     by_value
      - .offset:         44
        .size:           4
        .value_kind:     by_value
      - .address_space:  global
        .offset:         48
        .size:           8
        .value_kind:     global_buffer
      - .address_space:  global
        .offset:         56
        .size:           8
        .value_kind:     global_buffer
      - .offset:         64
        .size:           8
        .value_kind:     by_value
      - .address_space:  global
        .offset:         72
        .size:           8
        .value_kind:     global_buffer
      - .offset:         80
        .size:           8
        .value_kind:     by_value
      - .address_space:  global
        .offset:         88
        .size:           8
        .value_kind:     global_buffer
      - .offset:         96
        .size:           8
        .value_kind:     by_value
      - .address_space:  global
        .offset:         104
        .size:           8
        .value_kind:     global_buffer
      - .address_space:  global
        .offset:         112
        .size:           8
        .value_kind:     global_buffer
      - .address_space:  global
        .offset:         120
        .size:           8
        .value_kind:     global_buffer
      - .address_space:  global
        .offset:         128
        .size:           8
        .value_kind:     global_buffer
      - .address_space:  global
        .offset:         136
        .size:           8
        .value_kind:     global_buffer
      - .address_space:  global
        .offset:         144
        .size:           8
        .value_kind:     global_buffer
      - .address_space:  global
        .offset:         152
        .size:           8
        .value_kind:     global_buffer
      - .offset:         160
        .size:           8
        .value_kind:     by_value
      - .offset:         168
        .size:           8
        .value_kind:     by_value
    .group_segment_fixed_size: 6664
    .kernarg_segment_align: 8
    .kernarg_segment_size: 176
    .language:       OpenCL C
    .language_version:
      - 2
      - 0
    .max_flat_workgroup_size: 128
    .name:           _ZN9rocsolver6v33100L22stebz_bisection_kernelIdPdEEv15rocblas_erange_iT_T0_iiS5_iiPiPS4_lS6_lS6_lS6_S6_S7_S7_S7_S7_S6_S4_S4_
    .private_segment_fixed_size: 0
    .sgpr_count:     100
    .sgpr_spill_count: 2
    .symbol:         _ZN9rocsolver6v33100L22stebz_bisection_kernelIdPdEEv15rocblas_erange_iT_T0_iiS5_iiPiPS4_lS6_lS6_lS6_S6_S7_S7_S7_S7_S6_S4_S4_.kd
    .uniform_work_group_size: 1
    .uses_dynamic_stack: false
    .vgpr_count:     64
    .vgpr_spill_count: 0
    .wavefront_size: 64
  - .agpr_count:     0
    .args:
      - .offset:         0
        .size:           4
        .value_kind:     by_value
      - .offset:         4
        .size:           4
        .value_kind:     by_value
      - .offset:         8
        .size:           4
        .value_kind:     by_value
      - .offset:         12
        .size:           4
        .value_kind:     by_value
      - .offset:         16
        .size:           4
        .value_kind:     by_value
      - .address_space:  global
        .offset:         24
        .size:           8
        .value_kind:     global_buffer
      - .offset:         32
        .size:           4
        .value_kind:     by_value
      - .offset:         36
        .size:           4
        .value_kind:     by_value
      - .address_space:  global
        .offset:         40
        .size:           8
        .value_kind:     global_buffer
      - .address_space:  global
        .offset:         48
        .size:           8
        .value_kind:     global_buffer
      - .address_space:  global
        .offset:         56
        .size:           8
        .value_kind:     global_buffer
      - .offset:         64
        .size:           8
        .value_kind:     by_value
      - .address_space:  global
        .offset:         72
        .size:           8
        .value_kind:     global_buffer
      - .offset:         80
        .size:           8
        .value_kind:     by_value
      - .address_space:  global
        .offset:         88
        .size:           8
        .value_kind:     global_buffer
      - .offset:         96
        .size:           8
        .value_kind:     by_value
      - .offset:         104
        .size:           4
        .value_kind:     by_value
      - .address_space:  global
        .offset:         112
        .size:           8
        .value_kind:     global_buffer
      - .address_space:  global
        .offset:         120
        .size:           8
        .value_kind:     global_buffer
      - .address_space:  global
        .offset:         128
        .size:           8
        .value_kind:     global_buffer
      - .address_space:  global
        .offset:         136
        .size:           8
        .value_kind:     global_buffer
      - .address_space:  global
        .offset:         144
        .size:           8
        .value_kind:     global_buffer
      - .address_space:  global
        .offset:         152
        .size:           8
        .value_kind:     global_buffer
      - .offset:         160
        .size:           8
        .value_kind:     by_value
      - .offset:         168
        .size:           4
        .value_kind:     hidden_block_count_x
      - .offset:         172
        .size:           4
        .value_kind:     hidden_block_count_y
      - .offset:         176
        .size:           4
        .value_kind:     hidden_block_count_z
      - .offset:         180
        .size:           2
        .value_kind:     hidden_group_size_x
      - .offset:         182
        .size:           2
        .value_kind:     hidden_group_size_y
      - .offset:         184
        .size:           2
        .value_kind:     hidden_group_size_z
      - .offset:         186
        .size:           2
        .value_kind:     hidden_remainder_x
      - .offset:         188
        .size:           2
        .value_kind:     hidden_remainder_y
      - .offset:         190
        .size:           2
        .value_kind:     hidden_remainder_z
      - .offset:         208
        .size:           8
        .value_kind:     hidden_global_offset_x
      - .offset:         216
        .size:           8
        .value_kind:     hidden_global_offset_y
      - .offset:         224
        .size:           8
        .value_kind:     hidden_global_offset_z
      - .offset:         232
        .size:           2
        .value_kind:     hidden_grid_dims
    .group_segment_fixed_size: 0
    .kernarg_segment_align: 8
    .kernarg_segment_size: 424
    .language:       OpenCL C
    .language_version:
      - 2
      - 0
    .max_flat_workgroup_size: 1024
    .name:           _ZN9rocsolver6v33100L22stebz_synthesis_kernelIdPdEEv15rocblas_erange_15rocblas_eorder_iiiT0_iiPiS6_PT_lS6_lS6_liS6_S8_S8_S8_S8_S6_S7_
    .private_segment_fixed_size: 0
    .sgpr_count:     44
    .sgpr_spill_count: 0
    .symbol:         _ZN9rocsolver6v33100L22stebz_synthesis_kernelIdPdEEv15rocblas_erange_15rocblas_eorder_iiiT0_iiPiS6_PT_lS6_lS6_liS6_S8_S8_S8_S8_S6_S7_.kd
    .uniform_work_group_size: 1
    .uses_dynamic_stack: false
    .vgpr_count:     52
    .vgpr_spill_count: 0
    .wavefront_size: 64
  - .agpr_count:     0
    .args:
      - .offset:         0
        .size:           4
        .value_kind:     by_value
      - .address_space:  global
        .offset:         8
        .size:           8
        .value_kind:     global_buffer
      - .address_space:  global
        .offset:         16
        .size:           8
        .value_kind:     global_buffer
      - .offset:         24
        .size:           8
        .value_kind:     by_value
      - .address_space:  global
        .offset:         32
        .size:           8
        .value_kind:     global_buffer
      - .offset:         40
        .size:           4
        .value_kind:     hidden_block_count_x
      - .offset:         44
        .size:           4
        .value_kind:     hidden_block_count_y
      - .offset:         48
        .size:           4
        .value_kind:     hidden_block_count_z
      - .offset:         52
        .size:           2
        .value_kind:     hidden_group_size_x
      - .offset:         54
        .size:           2
        .value_kind:     hidden_group_size_y
      - .offset:         56
        .size:           2
        .value_kind:     hidden_group_size_z
      - .offset:         58
        .size:           2
        .value_kind:     hidden_remainder_x
      - .offset:         60
        .size:           2
        .value_kind:     hidden_remainder_y
      - .offset:         62
        .size:           2
        .value_kind:     hidden_remainder_z
      - .offset:         80
        .size:           8
        .value_kind:     hidden_global_offset_x
      - .offset:         88
        .size:           8
        .value_kind:     hidden_global_offset_y
      - .offset:         96
        .size:           8
        .value_kind:     hidden_global_offset_z
      - .offset:         104
        .size:           2
        .value_kind:     hidden_grid_dims
    .group_segment_fixed_size: 0
    .kernarg_segment_align: 8
    .kernarg_segment_size: 296
    .language:       OpenCL C
    .language_version:
      - 2
      - 0
    .max_flat_workgroup_size: 1024
    .name:           _ZN9rocsolver6v33100L15bdsvdx_abs_eigsIdEEviPiPT_lS4_
    .private_segment_fixed_size: 0
    .sgpr_count:     20
    .sgpr_spill_count: 0
    .symbol:         _ZN9rocsolver6v33100L15bdsvdx_abs_eigsIdEEviPiPT_lS4_.kd
    .uniform_work_group_size: 1
    .uses_dynamic_stack: false
    .vgpr_count:     5
    .vgpr_spill_count: 0
    .wavefront_size: 64
  - .agpr_count:     0
    .args:
      - .offset:         0
        .size:           4
        .value_kind:     by_value
      - .address_space:  global
        .offset:         8
        .size:           8
        .value_kind:     global_buffer
      - .offset:         16
        .size:           8
        .value_kind:     by_value
      - .address_space:  global
        .offset:         24
        .size:           8
        .value_kind:     global_buffer
      - .offset:         32
        .size:           8
        .value_kind:     by_value
      - .address_space:  global
        .offset:         40
        .size:           8
        .value_kind:     global_buffer
      - .address_space:  global
        .offset:         48
        .size:           8
        .value_kind:     global_buffer
      - .offset:         56
        .size:           8
        .value_kind:     by_value
      - .address_space:  global
        .offset:         64
        .size:           8
        .value_kind:     global_buffer
      - .offset:         72
        .size:           8
        .value_kind:     by_value
      - .address_space:  global
        .offset:         80
        .size:           8
        .value_kind:     global_buffer
      - .offset:         88
        .size:           8
        .value_kind:     by_value
      - .address_space:  global
        .offset:         96
        .size:           8
        .value_kind:     global_buffer
      - .offset:         104
        .size:           4
        .value_kind:     by_value
      - .offset:         108
        .size:           4
        .value_kind:     by_value
      - .offset:         112
        .size:           8
        .value_kind:     by_value
      - .address_space:  global
        .offset:         120
        .size:           8
        .value_kind:     global_buffer
      - .offset:         128
        .size:           8
        .value_kind:     by_value
      - .address_space:  global
        .offset:         136
        .size:           8
        .value_kind:     global_buffer
      - .address_space:  global
        .offset:         144
        .size:           8
        .value_kind:     global_buffer
      - .address_space:  global
        .offset:         152
        .size:           8
        .value_kind:     global_buffer
      - .offset:         160
        .size:           8
        .value_kind:     by_value
      - .offset:         168
        .size:           8
        .value_kind:     by_value
    .group_segment_fixed_size: 8
    .kernarg_segment_align: 8
    .kernarg_segment_size: 176
    .language:       OpenCL C
    .language_version:
      - 2
      - 0
    .max_flat_workgroup_size: 256
    .name:           _ZN9rocsolver6v33100L12stein_kernelIddPdEEviPT0_lS4_lPiS4_lS5_lS5_lT1_iilS5_lS5_S4_S5_S3_S3_
    .private_segment_fixed_size: 0
    .sgpr_count:     100
    .sgpr_spill_count: 48
    .symbol:         _ZN9rocsolver6v33100L12stein_kernelIddPdEEviPT0_lS4_lPiS4_lS5_lS5_lT1_iilS5_lS5_S4_S5_S3_S3_.kd
    .uniform_work_group_size: 1
    .uses_dynamic_stack: false
    .vgpr_count:     65
    .vgpr_spill_count: 0
    .wavefront_size: 64
  - .agpr_count:     0
    .args:
      - .offset:         0
        .size:           4
        .value_kind:     by_value
      - .address_space:  global
        .offset:         8
        .size:           8
        .value_kind:     global_buffer
      - .address_space:  global
        .offset:         16
        .size:           8
        .value_kind:     global_buffer
      - .offset:         24
        .size:           8
        .value_kind:     by_value
      - .address_space:  global
        .offset:         32
        .size:           8
        .value_kind:     global_buffer
      - .offset:         40
        .size:           4
        .value_kind:     by_value
      - .offset:         44
        .size:           4
        .value_kind:     by_value
      - .offset:         48
        .size:           8
        .value_kind:     by_value
      - .address_space:  global
        .offset:         56
        .size:           8
        .value_kind:     global_buffer
      - .offset:         64
        .size:           8
        .value_kind:     by_value
      - .address_space:  global
        .offset:         72
        .size:           8
        .value_kind:     global_buffer
      - .address_space:  global
        .offset:         80
        .size:           8
        .value_kind:     global_buffer
      - .offset:         88
        .size:           4
        .value_kind:     hidden_block_count_x
      - .offset:         92
        .size:           4
        .value_kind:     hidden_block_count_y
      - .offset:         96
        .size:           4
        .value_kind:     hidden_block_count_z
      - .offset:         100
        .size:           2
        .value_kind:     hidden_group_size_x
      - .offset:         102
        .size:           2
        .value_kind:     hidden_group_size_y
      - .offset:         104
        .size:           2
        .value_kind:     hidden_group_size_z
      - .offset:         106
        .size:           2
        .value_kind:     hidden_remainder_x
      - .offset:         108
        .size:           2
        .value_kind:     hidden_remainder_y
      - .offset:         110
        .size:           2
        .value_kind:     hidden_remainder_z
      - .offset:         128
        .size:           8
        .value_kind:     hidden_global_offset_x
      - .offset:         136
        .size:           8
        .value_kind:     hidden_global_offset_y
      - .offset:         144
        .size:           8
        .value_kind:     hidden_global_offset_z
      - .offset:         152
        .size:           2
        .value_kind:     hidden_grid_dims
      - .offset:         168
        .size:           8
        .value_kind:     hidden_hostcall_buffer
    .group_segment_fixed_size: 0
    .kernarg_segment_align: 8
    .kernarg_segment_size: 344
    .language:       OpenCL C
    .language_version:
      - 2
      - 0
    .max_flat_workgroup_size: 256
    .name:           _ZN9rocsolver6v33100L15syevx_sort_eigsIddPdEEviPiPT0_lT1_iilS3_lS3_S3_
    .private_segment_fixed_size: 64
    .sgpr_count:     62
    .sgpr_spill_count: 0
    .symbol:         _ZN9rocsolver6v33100L15syevx_sort_eigsIddPdEEviPiPT0_lT1_iilS3_lS3_S3_.kd
    .uniform_work_group_size: 1
    .uses_dynamic_stack: false
    .vgpr_count:     54
    .vgpr_spill_count: 0
    .wavefront_size: 64
  - .agpr_count:     0
    .args:
      - .offset:         0
        .size:           4
        .value_kind:     by_value
      - .offset:         4
        .size:           4
        .value_kind:     by_value
      - .address_space:  global
        .offset:         8
        .size:           8
        .value_kind:     global_buffer
      - .address_space:  global
        .offset:         16
        .size:           8
        .value_kind:     global_buffer
      - .offset:         24
        .size:           8
        .value_kind:     by_value
      - .address_space:  global
        .offset:         32
        .size:           8
        .value_kind:     global_buffer
      - .offset:         40
        .size:           4
        .value_kind:     by_value
      - .offset:         44
        .size:           4
        .value_kind:     by_value
      - .offset:         48
        .size:           8
        .value_kind:     by_value
      - .address_space:  global
        .offset:         56
        .size:           8
        .value_kind:     global_buffer
      - .offset:         64
        .size:           4
        .value_kind:     hidden_block_count_x
      - .offset:         68
        .size:           4
        .value_kind:     hidden_block_count_y
      - .offset:         72
        .size:           4
        .value_kind:     hidden_block_count_z
      - .offset:         76
        .size:           2
        .value_kind:     hidden_group_size_x
      - .offset:         78
        .size:           2
        .value_kind:     hidden_group_size_y
      - .offset:         80
        .size:           2
        .value_kind:     hidden_group_size_z
      - .offset:         82
        .size:           2
        .value_kind:     hidden_remainder_x
      - .offset:         84
        .size:           2
        .value_kind:     hidden_remainder_y
      - .offset:         86
        .size:           2
        .value_kind:     hidden_remainder_z
      - .offset:         104
        .size:           8
        .value_kind:     hidden_global_offset_x
      - .offset:         112
        .size:           8
        .value_kind:     hidden_global_offset_y
      - .offset:         120
        .size:           8
        .value_kind:     hidden_global_offset_z
      - .offset:         128
        .size:           2
        .value_kind:     hidden_grid_dims
    .group_segment_fixed_size: 0
    .kernarg_segment_align: 8
    .kernarg_segment_size: 320
    .language:       OpenCL C
    .language_version:
      - 2
      - 0
    .max_flat_workgroup_size: 1024
    .name:           _ZN9rocsolver6v33100L19bdsvdx_reorder_vectIdPdEEv13rocblas_fill_iPiPT_lT0_iilS6_
    .private_segment_fixed_size: 0
    .sgpr_count:     33
    .sgpr_spill_count: 0
    .symbol:         _ZN9rocsolver6v33100L19bdsvdx_reorder_vectIdPdEEv13rocblas_fill_iPiPT_lT0_iilS6_.kd
    .uniform_work_group_size: 1
    .uses_dynamic_stack: false
    .vgpr_count:     12
    .vgpr_spill_count: 0
    .wavefront_size: 64
amdhsa.target:   amdgcn-amd-amdhsa--gfx90a
amdhsa.version:
  - 1
  - 2
...

	.end_amdgpu_metadata
